;; amdgpu-corpus repo=ROCm/rocFFT kind=compiled arch=gfx1201 opt=O3
	.text
	.amdgcn_target "amdgcn-amd-amdhsa--gfx1201"
	.amdhsa_code_object_version 6
	.protected	bluestein_single_fwd_len1071_dim1_dp_op_CI_CI ; -- Begin function bluestein_single_fwd_len1071_dim1_dp_op_CI_CI
	.globl	bluestein_single_fwd_len1071_dim1_dp_op_CI_CI
	.p2align	8
	.type	bluestein_single_fwd_len1071_dim1_dp_op_CI_CI,@function
bluestein_single_fwd_len1071_dim1_dp_op_CI_CI: ; @bluestein_single_fwd_len1071_dim1_dp_op_CI_CI
; %bb.0:
	s_load_b128 s[8:11], s[0:1], 0x28
	v_mul_u32_u24_e32 v1, 0x227, v0
	s_mov_b32 s2, exec_lo
	v_mov_b32_e32 v4, 0
	s_delay_alu instid0(VALU_DEP_2) | instskip(NEXT) | instid1(VALU_DEP_1)
	v_lshrrev_b32_e32 v1, 16, v1
	v_add_nc_u32_e32 v3, ttmp9, v1
	s_delay_alu instid0(VALU_DEP_1)
	v_mov_b32_e32 v2, v3
	scratch_store_b64 off, v[2:3], off offset:4 ; 8-byte Folded Spill
	s_wait_kmcnt 0x0
	v_cmpx_gt_u64_e64 s[8:9], v[3:4]
	s_cbranch_execz .LBB0_23
; %bb.1:
	s_clause 0x1
	s_load_b64 s[8:9], s[0:1], 0x0
	s_load_b64 s[12:13], s[0:1], 0x38
	v_mul_lo_u16 v1, 0x77, v1
	s_delay_alu instid0(VALU_DEP_1) | instskip(NEXT) | instid1(VALU_DEP_1)
	v_sub_nc_u16 v0, v0, v1
	v_and_b32_e32 v1, 0xffff, v0
	v_cmp_gt_u16_e32 vcc_lo, 63, v0
	s_delay_alu instid0(VALU_DEP_2)
	v_lshlrev_b32_e32 v255, 4, v1
	scratch_store_b32 off, v1, off          ; 4-byte Folded Spill
	s_and_saveexec_b32 s3, vcc_lo
	s_cbranch_execz .LBB0_3
; %bb.2:
	s_clause 0x1
	scratch_load_b64 v[0:1], off, off offset:4
	scratch_load_b32 v4, off, off
	s_load_b64 s[4:5], s[0:1], 0x18
	s_wait_kmcnt 0x0
	s_load_b128 s[4:7], s[4:5], 0x0
	s_wait_loadcnt 0x0
	s_wait_kmcnt 0x0
	v_mad_co_u64_u32 v[32:33], null, s4, v4, 0
	s_delay_alu instid0(VALU_DEP_1) | instskip(NEXT) | instid1(VALU_DEP_1)
	v_dual_mov_b32 v2, v0 :: v_dual_mov_b32 v1, v33
	v_mad_co_u64_u32 v[16:17], null, s6, v2, 0
	s_delay_alu instid0(VALU_DEP_1) | instskip(NEXT) | instid1(VALU_DEP_1)
	v_mov_b32_e32 v0, v17
	v_mad_co_u64_u32 v[2:3], null, s7, v2, v[0:1]
	s_delay_alu instid0(VALU_DEP_1)
	v_mov_b32_e32 v17, v2
	v_mad_co_u64_u32 v[18:19], null, s5, v4, v[1:2]
	s_mul_u64 s[4:5], s[4:5], 0x3f0
	s_clause 0x3
	global_load_b128 v[0:3], v255, s[8:9]
	global_load_b128 v[4:7], v255, s[8:9] offset:1008
	global_load_b128 v[8:11], v255, s[8:9] offset:2016
	global_load_b128 v[12:15], v255, s[8:9] offset:3024
	v_lshlrev_b64_e32 v[34:35], 4, v[16:17]
	v_mov_b32_e32 v33, v18
	s_clause 0x3
	global_load_b128 v[16:19], v255, s[8:9] offset:4032
	global_load_b128 v[20:23], v255, s[8:9] offset:5040
	;; [unrolled: 1-line block ×4, first 2 shown]
	v_add_co_u32 v42, s2, s10, v34
	s_delay_alu instid0(VALU_DEP_1)
	v_add_co_ci_u32_e64 v43, s2, s11, v35, s2
	v_lshlrev_b64_e32 v[40:41], 4, v[32:33]
	s_clause 0x1
	global_load_b128 v[32:35], v255, s[8:9] offset:8064
	global_load_b128 v[36:39], v255, s[8:9] offset:9072
	v_add_co_u32 v56, s2, v42, v40
	s_wait_alu 0xf1ff
	v_add_co_ci_u32_e64 v57, s2, v43, v41, s2
	s_clause 0x1
	global_load_b128 v[40:43], v255, s[8:9] offset:10080
	global_load_b128 v[44:47], v255, s[8:9] offset:11088
	s_wait_alu 0xfffe
	v_add_co_u32 v60, s2, v56, s4
	s_wait_alu 0xf1ff
	v_add_co_ci_u32_e64 v61, s2, s5, v57, s2
	s_clause 0x1
	global_load_b128 v[48:51], v255, s[8:9] offset:12096
	global_load_b128 v[52:55], v255, s[8:9] offset:13104
	v_add_co_u32 v64, s2, v60, s4
	s_wait_alu 0xf1ff
	v_add_co_ci_u32_e64 v65, s2, s5, v61, s2
	s_clause 0x1
	global_load_b128 v[56:59], v[56:57], off
	global_load_b128 v[60:63], v[60:61], off
	v_add_co_u32 v68, s2, v64, s4
	s_wait_alu 0xf1ff
	v_add_co_ci_u32_e64 v69, s2, s5, v65, s2
	s_delay_alu instid0(VALU_DEP_2) | instskip(SKIP_1) | instid1(VALU_DEP_2)
	v_add_co_u32 v72, s2, v68, s4
	s_wait_alu 0xf1ff
	v_add_co_ci_u32_e64 v73, s2, s5, v69, s2
	s_clause 0x1
	global_load_b128 v[64:67], v[64:65], off
	global_load_b128 v[68:71], v[68:69], off
	v_add_co_u32 v76, s2, v72, s4
	s_wait_alu 0xf1ff
	v_add_co_ci_u32_e64 v77, s2, s5, v73, s2
	global_load_b128 v[72:75], v[72:73], off
	v_add_co_u32 v80, s2, v76, s4
	s_wait_alu 0xf1ff
	v_add_co_ci_u32_e64 v81, s2, s5, v77, s2
	;; [unrolled: 4-line block ×12, first 2 shown]
	s_clause 0x1
	global_load_b128 v[116:119], v255, s[8:9] offset:14112
	global_load_b128 v[120:123], v255, s[8:9] offset:15120
	global_load_b128 v[124:127], v[124:125], off
	global_load_b128 v[128:131], v255, s[8:9] offset:16128
	global_load_b128 v[132:135], v[132:133], off
	s_wait_loadcnt 0x13
	v_mul_f64_e32 v[136:137], v[58:59], v[2:3]
	v_mul_f64_e32 v[2:3], v[56:57], v[2:3]
	s_wait_loadcnt 0x12
	v_mul_f64_e32 v[138:139], v[62:63], v[6:7]
	v_mul_f64_e32 v[6:7], v[60:61], v[6:7]
	;; [unrolled: 3-line block ×14, first 2 shown]
	v_fma_f64 v[54:55], v[56:57], v[0:1], v[136:137]
	v_fma_f64 v[56:57], v[58:59], v[0:1], -v[2:3]
	v_fma_f64 v[0:1], v[60:61], v[4:5], v[138:139]
	v_fma_f64 v[2:3], v[62:63], v[4:5], -v[6:7]
	s_wait_loadcnt 0x4
	v_mul_f64_e32 v[166:167], v[114:115], v[118:119]
	v_mul_f64_e32 v[118:119], v[112:113], v[118:119]
	s_wait_loadcnt 0x2
	v_mul_f64_e32 v[168:169], v[126:127], v[122:123]
	v_mul_f64_e32 v[122:123], v[124:125], v[122:123]
	;; [unrolled: 3-line block ×3, first 2 shown]
	v_fma_f64 v[4:5], v[64:65], v[8:9], v[140:141]
	v_fma_f64 v[6:7], v[66:67], v[8:9], -v[10:11]
	v_fma_f64 v[8:9], v[68:69], v[12:13], v[142:143]
	v_fma_f64 v[10:11], v[70:71], v[12:13], -v[14:15]
	v_fma_f64 v[12:13], v[72:73], v[16:17], v[144:145]
	v_fma_f64 v[14:15], v[74:75], v[16:17], -v[18:19]
	v_fma_f64 v[16:17], v[76:77], v[20:21], v[146:147]
	v_fma_f64 v[18:19], v[78:79], v[20:21], -v[22:23]
	v_fma_f64 v[20:21], v[80:81], v[24:25], v[148:149]
	v_fma_f64 v[22:23], v[82:83], v[24:25], -v[26:27]
	v_fma_f64 v[24:25], v[84:85], v[28:29], v[150:151]
	v_fma_f64 v[26:27], v[86:87], v[28:29], -v[30:31]
	v_fma_f64 v[28:29], v[88:89], v[32:33], v[152:153]
	v_fma_f64 v[30:31], v[90:91], v[32:33], -v[34:35]
	v_fma_f64 v[32:33], v[92:93], v[36:37], v[154:155]
	v_fma_f64 v[34:35], v[94:95], v[36:37], -v[38:39]
	v_fma_f64 v[36:37], v[96:97], v[40:41], v[156:157]
	v_fma_f64 v[38:39], v[98:99], v[40:41], -v[42:43]
	v_fma_f64 v[40:41], v[100:101], v[44:45], v[158:159]
	v_fma_f64 v[42:43], v[102:103], v[44:45], -v[46:47]
	v_fma_f64 v[44:45], v[104:105], v[48:49], v[160:161]
	v_fma_f64 v[46:47], v[106:107], v[48:49], -v[50:51]
	v_fma_f64 v[48:49], v[108:109], v[52:53], v[162:163]
	v_fma_f64 v[50:51], v[110:111], v[52:53], -v[164:165]
	v_fma_f64 v[58:59], v[112:113], v[116:117], v[166:167]
	v_fma_f64 v[60:61], v[114:115], v[116:117], -v[118:119]
	v_fma_f64 v[62:63], v[124:125], v[120:121], v[168:169]
	v_fma_f64 v[64:65], v[126:127], v[120:121], -v[122:123]
	v_fma_f64 v[66:67], v[132:133], v[128:129], v[170:171]
	v_fma_f64 v[68:69], v[134:135], v[128:129], -v[130:131]
	ds_store_b128 v255, v[54:57]
	ds_store_b128 v255, v[0:3] offset:1008
	ds_store_b128 v255, v[4:7] offset:2016
	;; [unrolled: 1-line block ×16, first 2 shown]
.LBB0_3:
	s_or_b32 exec_lo, exec_lo, s3
	global_wb scope:SCOPE_SE
	s_wait_storecnt_dscnt 0x0
	s_wait_kmcnt 0x0
	s_barrier_signal -1
	s_barrier_wait -1
	global_inv scope:SCOPE_SE
                                        ; implicit-def: $vgpr12_vgpr13
                                        ; implicit-def: $vgpr40_vgpr41
                                        ; implicit-def: $vgpr44_vgpr45
                                        ; implicit-def: $vgpr48_vgpr49
                                        ; implicit-def: $vgpr52_vgpr53
                                        ; implicit-def: $vgpr56_vgpr57
                                        ; implicit-def: $vgpr60_vgpr61
                                        ; implicit-def: $vgpr68_vgpr69
                                        ; implicit-def: $vgpr72_vgpr73
                                        ; implicit-def: $vgpr76_vgpr77
                                        ; implicit-def: $vgpr64_vgpr65
                                        ; implicit-def: $vgpr36_vgpr37
                                        ; implicit-def: $vgpr32_vgpr33
                                        ; implicit-def: $vgpr28_vgpr29
                                        ; implicit-def: $vgpr24_vgpr25
                                        ; implicit-def: $vgpr20_vgpr21
                                        ; implicit-def: $vgpr16_vgpr17
	s_and_saveexec_b32 s2, vcc_lo
	s_cbranch_execz .LBB0_5
; %bb.4:
	ds_load_b128 v[12:15], v255
	ds_load_b128 v[40:43], v255 offset:1008
	ds_load_b128 v[44:47], v255 offset:2016
	;; [unrolled: 1-line block ×16, first 2 shown]
.LBB0_5:
	s_wait_alu 0xfffe
	s_or_b32 exec_lo, exec_lo, s2
	s_wait_dscnt 0x0
	v_add_f64_e64 v[2:3], v[42:43], -v[18:19]
	s_mov_b32 s38, 0x5d8e7cdc
	s_mov_b32 s39, 0xbfd71e95
	v_add_f64_e32 v[112:113], v[40:41], v[16:17]
	v_add_f64_e64 v[0:1], v[40:41], -v[16:17]
	v_add_f64_e64 v[118:119], v[46:47], -v[22:23]
	s_clause 0x1
	s_load_b64 s[4:5], s[0:1], 0x20
	s_load_b64 s[2:3], s[0:1], 0x8
	s_mov_b32 s0, 0x370991
	s_mov_b32 s46, 0x2a9d6da3
	;; [unrolled: 1-line block ×4, first 2 shown]
	v_add_f64_e32 v[114:115], v[42:43], v[18:19]
	v_add_f64_e32 v[108:109], v[44:45], v[20:21]
	v_add_f64_e64 v[116:117], v[44:45], -v[20:21]
	s_mov_b32 s6, 0x75d4884
	s_mov_b32 s7, 0x3fe7a5f6
	v_add_f64_e32 v[110:111], v[46:47], v[22:23]
	s_mov_b32 s42, 0xeb564b22
	s_mov_b32 s43, 0xbfefdd0d
	;; [unrolled: 1-line block ×21, first 2 shown]
	v_mul_f64_e32 v[4:5], s[38:39], v[2:3]
	v_mul_f64_e32 v[8:9], s[46:47], v[2:3]
	;; [unrolled: 1-line block ×10, first 2 shown]
	s_mov_b32 s31, 0xbfe0d888
	s_mov_b32 s51, 0x3fe0d888
	;; [unrolled: 1-line block ×3, first 2 shown]
	v_mul_f64_e32 v[122:123], s[46:47], v[116:117]
	v_mul_f64_e32 v[90:91], s[24:25], v[0:1]
	s_mov_b32 s20, 0x910ea3b9
	s_mov_b32 s21, 0xbfeb34fa
	v_mul_f64_e32 v[92:93], s[26:27], v[2:3]
	s_mov_b32 s49, 0x3feec746
	s_mov_b32 s48, s24
	v_mul_f64_e32 v[94:95], s[26:27], v[0:1]
	v_mul_f64_e32 v[96:97], s[30:31], v[2:3]
	s_mov_b32 s29, 0x3feca52d
	s_mov_b32 s28, s36
	v_mul_f64_e32 v[100:101], s[30:31], v[0:1]
	;; [unrolled: 4-line block ×3, first 2 shown]
	v_add_f64_e32 v[144:145], v[48:49], v[24:25]
	v_add_f64_e32 v[148:149], v[50:51], v[26:27]
	s_mov_b32 s41, 0x3fc7851a
	s_mov_b32 s40, s34
	v_add_f64_e32 v[172:173], v[52:53], v[28:29]
	v_add_f64_e32 v[177:178], v[54:55], v[30:31]
	s_mov_b32 s53, 0x3fe9895b
	s_mov_b32 s52, s26
	v_add_f64_e32 v[201:202], v[56:57], v[32:33]
	scratch_store_b64 off, v[4:5], off offset:16 ; 8-byte Folded Spill
	s_wait_alu 0xfffe
	v_fma_f64 v[4:5], v[112:113], s[0:1], v[4:5]
	scratch_store_b64 off, v[8:9], off offset:32 ; 8-byte Folded Spill
	v_fma_f64 v[8:9], v[112:113], s[6:7], v[8:9]
	scratch_store_b64 off, v[6:7], off offset:24 ; 8-byte Folded Spill
	v_fma_f64 v[6:7], v[114:115], s[0:1], -v[6:7]
	scratch_store_b64 off, v[120:121], off offset:144 ; 8-byte Folded Spill
	v_fma_f64 v[120:121], v[108:109], s[6:7], v[120:121]
	scratch_store_b64 off, v[10:11], off offset:48 ; 8-byte Folded Spill
	v_fma_f64 v[10:11], v[114:115], s[6:7], -v[10:11]
	s_clause 0x3
	scratch_store_b64 off, v[80:81], off offset:64
	scratch_store_b64 off, v[82:83], off offset:80
	;; [unrolled: 1-line block ×4, first 2 shown]
	v_fma_f64 v[80:81], v[112:113], s[10:11], v[80:81]
	v_fma_f64 v[82:83], v[114:115], s[10:11], -v[82:83]
	v_fma_f64 v[84:85], v[112:113], s[14:15], v[84:85]
	v_fma_f64 v[86:87], v[114:115], s[14:15], -v[86:87]
	s_clause 0x3
	scratch_store_b64 off, v[88:89], off offset:112
	scratch_store_b64 off, v[90:91], off offset:120
	;; [unrolled: 1-line block ×4, first 2 shown]
	v_fma_f64 v[88:89], v[112:113], s[16:17], v[88:89]
	v_fma_f64 v[90:91], v[114:115], s[16:17], -v[90:91]
	v_fma_f64 v[92:93], v[112:113], s[18:19], v[92:93]
	v_fma_f64 v[94:95], v[114:115], s[18:19], -v[94:95]
	v_fma_f64 v[98:99], v[112:113], s[20:21], -v[96:97]
	v_fma_f64 v[96:97], v[112:113], s[20:21], v[96:97]
	v_fma_f64 v[102:103], v[114:115], s[20:21], v[100:101]
	v_fma_f64 v[100:101], v[114:115], s[20:21], -v[100:101]
	v_fma_f64 v[104:105], v[112:113], s[22:23], -v[2:3]
	v_fma_f64 v[2:3], v[112:113], s[22:23], v[2:3]
	v_fma_f64 v[106:107], v[114:115], s[22:23], v[0:1]
	v_fma_f64 v[0:1], v[114:115], s[22:23], -v[0:1]
	v_add_f64_e32 v[203:204], v[58:59], v[34:35]
	v_add_f64_e32 v[229:230], v[60:61], v[36:37]
	;; [unrolled: 1-line block ×3, first 2 shown]
	v_add_f64_e64 v[152:153], v[70:71], -v[66:67]
	v_add_f64_e64 v[209:210], v[74:75], -v[78:79]
	v_add_f64_e32 v[4:5], v[12:13], v[4:5]
	v_add_f64_e64 v[199:200], v[72:73], -v[76:77]
	v_add_f64_e32 v[8:9], v[12:13], v[8:9]
	v_add_f64_e32 v[6:7], v[14:15], v[6:7]
	;; [unrolled: 1-line block ×19, first 2 shown]
	v_mul_f64_e32 v[166:167], s[28:29], v[152:153]
	v_mul_f64_e32 v[162:163], s[42:43], v[152:153]
	v_add_f64_e32 v[4:5], v[120:121], v[4:5]
	v_fma_f64 v[120:121], v[110:111], s[6:7], -v[122:123]
	v_mul_f64_e32 v[158:159], s[52:53], v[152:153]
	v_mul_f64_e32 v[170:171], s[34:35], v[152:153]
	;; [unrolled: 1-line block ×7, first 2 shown]
	v_add_f64_e32 v[6:7], v[120:121], v[6:7]
	v_mul_f64_e32 v[120:121], s[42:43], v[118:119]
	scratch_store_b64 off, v[122:123], off offset:152 ; 8-byte Folded Spill
	v_mul_f64_e32 v[122:123], s[42:43], v[116:117]
	scratch_store_b64 off, v[120:121], off offset:208 ; 8-byte Folded Spill
	v_fma_f64 v[120:121], v[108:109], s[14:15], v[120:121]
	scratch_store_b64 off, v[122:123], off offset:216 ; 8-byte Folded Spill
	v_add_f64_e32 v[8:9], v[120:121], v[8:9]
	v_fma_f64 v[120:121], v[110:111], s[14:15], -v[122:123]
	v_mul_f64_e32 v[122:123], s[26:27], v[116:117]
	s_delay_alu instid0(VALU_DEP_2)
	v_add_f64_e32 v[10:11], v[120:121], v[10:11]
	v_mul_f64_e32 v[120:121], s[26:27], v[118:119]
	s_clause 0x1
	scratch_store_b64 off, v[122:123], off offset:200
	scratch_store_b64 off, v[120:121], off offset:192
	v_fma_f64 v[120:121], v[108:109], s[18:19], v[120:121]
	s_delay_alu instid0(VALU_DEP_1) | instskip(SKIP_2) | instid1(VALU_DEP_2)
	v_add_f64_e32 v[80:81], v[120:121], v[80:81]
	v_fma_f64 v[120:121], v[110:111], s[18:19], -v[122:123]
	v_mul_f64_e32 v[122:123], s[34:35], v[116:117]
	v_add_f64_e32 v[82:83], v[120:121], v[82:83]
	v_mul_f64_e32 v[120:121], s[34:35], v[118:119]
	s_clause 0x1
	scratch_store_b64 off, v[122:123], off offset:184
	scratch_store_b64 off, v[120:121], off offset:176
	v_fma_f64 v[120:121], v[108:109], s[22:23], v[120:121]
	s_delay_alu instid0(VALU_DEP_1) | instskip(SKIP_2) | instid1(VALU_DEP_2)
	v_add_f64_e32 v[84:85], v[120:121], v[84:85]
	v_fma_f64 v[120:121], v[110:111], s[22:23], -v[122:123]
	v_mul_f64_e32 v[122:123], s[50:51], v[116:117]
	v_add_f64_e32 v[86:87], v[120:121], v[86:87]
	v_mul_f64_e32 v[120:121], s[50:51], v[118:119]
	scratch_store_b64 off, v[120:121], off offset:160 ; 8-byte Folded Spill
	v_fma_f64 v[120:121], v[108:109], s[20:21], v[120:121]
	s_delay_alu instid0(VALU_DEP_1) | instskip(SKIP_1) | instid1(VALU_DEP_1)
	v_add_f64_e32 v[88:89], v[120:121], v[88:89]
	v_fma_f64 v[120:121], v[110:111], s[20:21], -v[122:123]
	v_add_f64_e32 v[90:91], v[120:121], v[90:91]
	v_mul_f64_e32 v[120:121], s[48:49], v[118:119]
	scratch_store_b64 off, v[122:123], off offset:168 ; 8-byte Folded Spill
	v_mul_f64_e32 v[122:123], s[48:49], v[116:117]
	scratch_store_b64 off, v[120:121], off offset:224 ; 8-byte Folded Spill
	v_fma_f64 v[120:121], v[108:109], s[16:17], v[120:121]
	scratch_store_b64 off, v[122:123], off offset:232 ; 8-byte Folded Spill
	v_add_f64_e32 v[92:93], v[120:121], v[92:93]
	v_fma_f64 v[120:121], v[110:111], s[16:17], -v[122:123]
	s_delay_alu instid0(VALU_DEP_1) | instskip(SKIP_2) | instid1(VALU_DEP_2)
	v_add_f64_e32 v[94:95], v[120:121], v[94:95]
	v_mul_f64_e32 v[120:121], s[28:29], v[118:119]
	v_mul_f64_e32 v[118:119], s[44:45], v[118:119]
	v_fma_f64 v[122:123], v[108:109], s[10:11], -v[120:121]
	v_fma_f64 v[120:121], v[108:109], s[10:11], v[120:121]
	s_delay_alu instid0(VALU_DEP_2) | instskip(SKIP_1) | instid1(VALU_DEP_3)
	v_add_f64_e32 v[98:99], v[122:123], v[98:99]
	v_mul_f64_e32 v[122:123], s[28:29], v[116:117]
	v_add_f64_e32 v[96:97], v[120:121], v[96:97]
	v_mul_f64_e32 v[116:117], s[44:45], v[116:117]
	s_delay_alu instid0(VALU_DEP_3) | instskip(SKIP_1) | instid1(VALU_DEP_2)
	v_fma_f64 v[120:121], v[110:111], s[10:11], -v[122:123]
	v_fma_f64 v[124:125], v[110:111], s[10:11], v[122:123]
	v_add_f64_e32 v[100:101], v[120:121], v[100:101]
	v_fma_f64 v[120:121], v[108:109], s[0:1], -v[118:119]
	v_fma_f64 v[118:119], v[108:109], s[0:1], v[118:119]
	s_delay_alu instid0(VALU_DEP_4) | instskip(NEXT) | instid1(VALU_DEP_3)
	v_add_f64_e32 v[102:103], v[124:125], v[102:103]
	v_add_f64_e32 v[104:105], v[120:121], v[104:105]
	v_fma_f64 v[120:121], v[110:111], s[0:1], v[116:117]
	s_delay_alu instid0(VALU_DEP_4) | instskip(SKIP_2) | instid1(VALU_DEP_4)
	v_add_f64_e32 v[2:3], v[118:119], v[2:3]
	v_fma_f64 v[116:117], v[110:111], s[0:1], -v[116:117]
	v_add_f64_e64 v[118:119], v[50:51], -v[26:27]
	v_add_f64_e32 v[106:107], v[120:121], v[106:107]
	s_delay_alu instid0(VALU_DEP_3) | instskip(SKIP_1) | instid1(VALU_DEP_4)
	v_add_f64_e32 v[0:1], v[116:117], v[0:1]
	v_add_f64_e64 v[116:117], v[48:49], -v[24:25]
	v_mul_f64_e32 v[120:121], s[36:37], v[118:119]
	s_delay_alu instid0(VALU_DEP_2) | instskip(SKIP_2) | instid1(VALU_DEP_1)
	v_mul_f64_e32 v[122:123], s[36:37], v[116:117]
	scratch_store_b64 off, v[120:121], off offset:240 ; 8-byte Folded Spill
	v_fma_f64 v[120:121], v[144:145], s[10:11], v[120:121]
	v_add_f64_e32 v[4:5], v[120:121], v[4:5]
	v_fma_f64 v[120:121], v[148:149], s[10:11], -v[122:123]
	s_delay_alu instid0(VALU_DEP_1)
	v_add_f64_e32 v[6:7], v[120:121], v[6:7]
	v_mul_f64_e32 v[120:121], s[26:27], v[118:119]
	scratch_store_b64 off, v[122:123], off offset:248 ; 8-byte Folded Spill
	v_mul_f64_e32 v[122:123], s[26:27], v[116:117]
	scratch_store_b64 off, v[120:121], off offset:304 ; 8-byte Folded Spill
	v_fma_f64 v[120:121], v[144:145], s[18:19], v[120:121]
	scratch_store_b64 off, v[122:123], off offset:312 ; 8-byte Folded Spill
	v_add_f64_e32 v[8:9], v[120:121], v[8:9]
	v_fma_f64 v[120:121], v[148:149], s[18:19], -v[122:123]
	v_mul_f64_e32 v[122:123], s[40:41], v[116:117]
	s_delay_alu instid0(VALU_DEP_2)
	v_add_f64_e32 v[10:11], v[120:121], v[10:11]
	v_mul_f64_e32 v[120:121], s[40:41], v[118:119]
	s_mov_b32 s41, 0x3fe58eea
	s_mov_b32 s40, s46
	scratch_store_b64 off, v[122:123], off offset:296 ; 8-byte Folded Spill
	s_wait_alu 0xfffe
	v_mul_f64_e32 v[179:180], s[40:41], v[152:153]
	v_mul_f64_e32 v[193:194], s[40:41], v[199:200]
	scratch_store_b64 off, v[120:121], off offset:288 ; 8-byte Folded Spill
	v_fma_f64 v[120:121], v[144:145], s[22:23], v[120:121]
	s_delay_alu instid0(VALU_DEP_1) | instskip(SKIP_2) | instid1(VALU_DEP_2)
	v_add_f64_e32 v[80:81], v[120:121], v[80:81]
	v_fma_f64 v[120:121], v[148:149], s[22:23], -v[122:123]
	v_mul_f64_e32 v[122:123], s[48:49], v[116:117]
	v_add_f64_e32 v[82:83], v[120:121], v[82:83]
	v_mul_f64_e32 v[120:121], s[48:49], v[118:119]
	s_clause 0x1
	scratch_store_b64 off, v[122:123], off offset:280
	scratch_store_b64 off, v[120:121], off offset:272
	v_fma_f64 v[120:121], v[144:145], s[16:17], v[120:121]
	s_delay_alu instid0(VALU_DEP_1) | instskip(SKIP_2) | instid1(VALU_DEP_2)
	v_add_f64_e32 v[84:85], v[120:121], v[84:85]
	v_fma_f64 v[120:121], v[148:149], s[16:17], -v[122:123]
	v_mul_f64_e32 v[122:123], s[40:41], v[116:117]
	v_add_f64_e32 v[86:87], v[120:121], v[86:87]
	v_mul_f64_e32 v[120:121], s[40:41], v[118:119]
	scratch_store_b64 off, v[120:121], off offset:256 ; 8-byte Folded Spill
	v_fma_f64 v[120:121], v[144:145], s[6:7], v[120:121]
	s_delay_alu instid0(VALU_DEP_1) | instskip(SKIP_1) | instid1(VALU_DEP_1)
	v_add_f64_e32 v[88:89], v[120:121], v[88:89]
	v_fma_f64 v[120:121], v[148:149], s[6:7], -v[122:123]
	v_add_f64_e32 v[90:91], v[120:121], v[90:91]
	v_mul_f64_e32 v[120:121], s[38:39], v[118:119]
	scratch_store_b64 off, v[122:123], off offset:264 ; 8-byte Folded Spill
	v_mul_f64_e32 v[122:123], s[38:39], v[116:117]
	scratch_store_b64 off, v[120:121], off offset:320 ; 8-byte Folded Spill
	v_fma_f64 v[120:121], v[144:145], s[0:1], v[120:121]
	scratch_store_b64 off, v[122:123], off offset:328 ; 8-byte Folded Spill
	v_add_f64_e32 v[92:93], v[120:121], v[92:93]
	v_fma_f64 v[120:121], v[148:149], s[0:1], -v[122:123]
	s_delay_alu instid0(VALU_DEP_1) | instskip(SKIP_2) | instid1(VALU_DEP_2)
	v_add_f64_e32 v[94:95], v[120:121], v[94:95]
	v_mul_f64_e32 v[120:121], s[42:43], v[118:119]
	v_mul_f64_e32 v[118:119], s[30:31], v[118:119]
	v_fma_f64 v[122:123], v[144:145], s[14:15], -v[120:121]
	v_fma_f64 v[120:121], v[144:145], s[14:15], v[120:121]
	s_delay_alu instid0(VALU_DEP_2) | instskip(SKIP_1) | instid1(VALU_DEP_3)
	v_add_f64_e32 v[98:99], v[122:123], v[98:99]
	v_mul_f64_e32 v[122:123], s[42:43], v[116:117]
	v_add_f64_e32 v[96:97], v[120:121], v[96:97]
	v_mul_f64_e32 v[116:117], s[30:31], v[116:117]
	s_delay_alu instid0(VALU_DEP_3) | instskip(SKIP_1) | instid1(VALU_DEP_2)
	v_fma_f64 v[120:121], v[148:149], s[14:15], -v[122:123]
	v_fma_f64 v[124:125], v[148:149], s[14:15], v[122:123]
	v_add_f64_e32 v[100:101], v[120:121], v[100:101]
	v_fma_f64 v[120:121], v[144:145], s[20:21], -v[118:119]
	v_fma_f64 v[118:119], v[144:145], s[20:21], v[118:119]
	s_delay_alu instid0(VALU_DEP_4) | instskip(NEXT) | instid1(VALU_DEP_3)
	v_add_f64_e32 v[102:103], v[124:125], v[102:103]
	v_add_f64_e32 v[104:105], v[120:121], v[104:105]
	v_fma_f64 v[120:121], v[148:149], s[20:21], v[116:117]
	s_delay_alu instid0(VALU_DEP_4) | instskip(SKIP_2) | instid1(VALU_DEP_4)
	v_add_f64_e32 v[2:3], v[118:119], v[2:3]
	v_fma_f64 v[116:117], v[148:149], s[20:21], -v[116:117]
	v_add_f64_e64 v[118:119], v[54:55], -v[30:31]
	v_add_f64_e32 v[106:107], v[120:121], v[106:107]
	s_delay_alu instid0(VALU_DEP_3) | instskip(SKIP_1) | instid1(VALU_DEP_4)
	v_add_f64_e32 v[0:1], v[116:117], v[0:1]
	v_add_f64_e64 v[116:117], v[52:53], -v[28:29]
	v_mul_f64_e32 v[120:121], s[42:43], v[118:119]
	v_mul_f64_e32 v[217:218], s[34:35], v[118:119]
	;; [unrolled: 1-line block ×3, first 2 shown]
	s_delay_alu instid0(VALU_DEP_4) | instskip(SKIP_4) | instid1(VALU_DEP_3)
	v_mul_f64_e32 v[122:123], s[42:43], v[116:117]
	scratch_store_b64 off, v[120:121], off offset:336 ; 8-byte Folded Spill
	v_fma_f64 v[120:121], v[172:173], s[14:15], v[120:121]
	v_mul_f64_e32 v[219:220], s[34:35], v[116:117]
	v_mul_f64_e32 v[227:228], s[30:31], v[116:117]
	v_add_f64_e32 v[4:5], v[120:121], v[4:5]
	v_fma_f64 v[120:121], v[177:178], s[14:15], -v[122:123]
	s_delay_alu instid0(VALU_DEP_1) | instskip(SKIP_1) | instid1(VALU_DEP_1)
	v_add_f64_e32 v[6:7], v[120:121], v[6:7]
	v_fma_f64 v[120:121], v[172:173], s[22:23], v[217:218]
	v_add_f64_e32 v[8:9], v[120:121], v[8:9]
	v_fma_f64 v[120:121], v[177:178], s[22:23], -v[219:220]
	s_delay_alu instid0(VALU_DEP_1)
	v_add_f64_e32 v[10:11], v[120:121], v[10:11]
	v_mul_f64_e32 v[120:121], s[48:49], v[118:119]
	scratch_store_b64 off, v[122:123], off offset:344 ; 8-byte Folded Spill
	v_mul_f64_e32 v[122:123], s[48:49], v[116:117]
	scratch_store_b64 off, v[120:121], off offset:384 ; 8-byte Folded Spill
	v_fma_f64 v[120:121], v[172:173], s[16:17], v[120:121]
	scratch_store_b64 off, v[122:123], off offset:392 ; 8-byte Folded Spill
	v_add_f64_e32 v[80:81], v[120:121], v[80:81]
	v_fma_f64 v[120:121], v[177:178], s[16:17], -v[122:123]
	v_mul_f64_e32 v[122:123], s[44:45], v[116:117]
	s_delay_alu instid0(VALU_DEP_2)
	v_add_f64_e32 v[82:83], v[120:121], v[82:83]
	v_mul_f64_e32 v[120:121], s[44:45], v[118:119]
	s_clause 0x1
	scratch_store_b64 off, v[122:123], off offset:376
	scratch_store_b64 off, v[120:121], off offset:368
	v_fma_f64 v[120:121], v[172:173], s[0:1], v[120:121]
	s_delay_alu instid0(VALU_DEP_1) | instskip(SKIP_2) | instid1(VALU_DEP_2)
	v_add_f64_e32 v[84:85], v[120:121], v[84:85]
	v_fma_f64 v[120:121], v[177:178], s[0:1], -v[122:123]
	v_mul_f64_e32 v[122:123], s[36:37], v[116:117]
	v_add_f64_e32 v[86:87], v[120:121], v[86:87]
	v_mul_f64_e32 v[120:121], s[36:37], v[118:119]
	s_clause 0x1
	scratch_store_b64 off, v[122:123], off offset:360
	scratch_store_b64 off, v[120:121], off offset:352
	v_fma_f64 v[120:121], v[172:173], s[10:11], v[120:121]
	global_wb scope:SCOPE_SE
	s_wait_storecnt 0x0
	s_wait_kmcnt 0x0
	s_barrier_signal -1
	s_barrier_wait -1
	global_inv scope:SCOPE_SE
	scratch_load_b32 v176, off, off         ; 4-byte Folded Reload
	v_add_f64_e32 v[88:89], v[120:121], v[88:89]
	v_fma_f64 v[120:121], v[177:178], s[10:11], -v[122:123]
	s_delay_alu instid0(VALU_DEP_1) | instskip(SKIP_1) | instid1(VALU_DEP_1)
	v_add_f64_e32 v[90:91], v[120:121], v[90:91]
	v_fma_f64 v[120:121], v[172:173], s[20:21], v[221:222]
	v_add_f64_e32 v[92:93], v[120:121], v[92:93]
	v_fma_f64 v[120:121], v[177:178], s[20:21], -v[227:228]
	s_delay_alu instid0(VALU_DEP_1) | instskip(SKIP_2) | instid1(VALU_DEP_2)
	v_add_f64_e32 v[94:95], v[120:121], v[94:95]
	v_mul_f64_e32 v[120:121], s[52:53], v[118:119]
	v_mul_f64_e32 v[118:119], s[40:41], v[118:119]
	v_fma_f64 v[122:123], v[172:173], s[18:19], -v[120:121]
	v_fma_f64 v[120:121], v[172:173], s[18:19], v[120:121]
	s_delay_alu instid0(VALU_DEP_2) | instskip(SKIP_1) | instid1(VALU_DEP_3)
	v_add_f64_e32 v[98:99], v[122:123], v[98:99]
	v_mul_f64_e32 v[122:123], s[52:53], v[116:117]
	v_add_f64_e32 v[96:97], v[120:121], v[96:97]
	v_mul_f64_e32 v[116:117], s[40:41], v[116:117]
	s_delay_alu instid0(VALU_DEP_3) | instskip(SKIP_1) | instid1(VALU_DEP_2)
	v_fma_f64 v[120:121], v[177:178], s[18:19], -v[122:123]
	v_fma_f64 v[124:125], v[177:178], s[18:19], v[122:123]
	v_add_f64_e32 v[100:101], v[120:121], v[100:101]
	v_fma_f64 v[120:121], v[172:173], s[6:7], -v[118:119]
	v_fma_f64 v[118:119], v[172:173], s[6:7], v[118:119]
	s_delay_alu instid0(VALU_DEP_4)
	v_add_f64_e32 v[102:103], v[124:125], v[102:103]
	s_wait_loadcnt 0x0
	v_mul_lo_u16 v176, v176, 17
	scratch_store_b32 off, v176, off offset:12 ; 4-byte Folded Spill
	v_add_f64_e32 v[104:105], v[120:121], v[104:105]
	v_fma_f64 v[120:121], v[177:178], s[6:7], v[116:117]
	v_add_f64_e32 v[2:3], v[118:119], v[2:3]
	v_fma_f64 v[116:117], v[177:178], s[6:7], -v[116:117]
	v_add_f64_e64 v[118:119], v[58:59], -v[34:35]
	s_delay_alu instid0(VALU_DEP_4) | instskip(NEXT) | instid1(VALU_DEP_3)
	v_add_f64_e32 v[106:107], v[120:121], v[106:107]
	v_add_f64_e32 v[0:1], v[116:117], v[0:1]
	v_add_f64_e64 v[116:117], v[56:57], -v[32:33]
	s_delay_alu instid0(VALU_DEP_4)
	v_mul_f64_e32 v[223:224], s[24:25], v[118:119]
	v_mul_f64_e32 v[245:246], s[50:51], v[118:119]
	;; [unrolled: 1-line block ×6, first 2 shown]
	v_fma_f64 v[120:121], v[201:202], s[16:17], v[223:224]
	v_mul_f64_e32 v[247:248], s[50:51], v[116:117]
	v_mul_f64_e32 v[243:244], s[40:41], v[116:117]
	;; [unrolled: 1-line block ×4, first 2 shown]
	s_mov_b32 s37, 0x3fefdd0d
	s_mov_b32 s36, s42
	s_wait_alu 0xfffe
	v_mul_f64_e32 v[249:250], s[36:37], v[118:119]
	v_mul_f64_e32 v[251:252], s[36:37], v[116:117]
	v_add_f64_e32 v[4:5], v[120:121], v[4:5]
	v_fma_f64 v[120:121], v[203:204], s[16:17], -v[225:226]
	s_delay_alu instid0(VALU_DEP_1) | instskip(SKIP_1) | instid1(VALU_DEP_1)
	v_add_f64_e32 v[6:7], v[120:121], v[6:7]
	v_fma_f64 v[120:121], v[201:202], s[20:21], v[245:246]
	v_add_f64_e32 v[8:9], v[120:121], v[8:9]
	v_fma_f64 v[120:121], v[203:204], s[20:21], -v[247:248]
	s_delay_alu instid0(VALU_DEP_1) | instskip(SKIP_1) | instid1(VALU_DEP_1)
	v_add_f64_e32 v[10:11], v[120:121], v[10:11]
	v_fma_f64 v[120:121], v[201:202], s[6:7], v[241:242]
	;; [unrolled: 5-line block ×5, first 2 shown]
	v_add_f64_e32 v[92:93], v[120:121], v[92:93]
	v_fma_f64 v[120:121], v[203:204], s[14:15], -v[251:252]
	s_delay_alu instid0(VALU_DEP_1) | instskip(SKIP_2) | instid1(VALU_DEP_2)
	v_add_f64_e32 v[94:95], v[120:121], v[94:95]
	v_mul_f64_e32 v[120:121], s[38:39], v[118:119]
	v_mul_f64_e32 v[118:119], s[26:27], v[118:119]
	v_fma_f64 v[122:123], v[201:202], s[0:1], -v[120:121]
	v_fma_f64 v[120:121], v[201:202], s[0:1], v[120:121]
	s_delay_alu instid0(VALU_DEP_2) | instskip(SKIP_1) | instid1(VALU_DEP_3)
	v_add_f64_e32 v[98:99], v[122:123], v[98:99]
	v_mul_f64_e32 v[122:123], s[38:39], v[116:117]
	v_add_f64_e32 v[96:97], v[120:121], v[96:97]
	v_mul_f64_e32 v[116:117], s[26:27], v[116:117]
	s_delay_alu instid0(VALU_DEP_3) | instskip(SKIP_1) | instid1(VALU_DEP_2)
	v_fma_f64 v[120:121], v[203:204], s[0:1], -v[122:123]
	v_fma_f64 v[124:125], v[203:204], s[0:1], v[122:123]
	v_add_f64_e32 v[100:101], v[120:121], v[100:101]
	v_fma_f64 v[120:121], v[201:202], s[18:19], -v[118:119]
	v_fma_f64 v[118:119], v[201:202], s[18:19], v[118:119]
	s_delay_alu instid0(VALU_DEP_4) | instskip(NEXT) | instid1(VALU_DEP_3)
	v_add_f64_e32 v[102:103], v[124:125], v[102:103]
	v_add_f64_e32 v[104:105], v[120:121], v[104:105]
	v_fma_f64 v[120:121], v[203:204], s[18:19], v[116:117]
	s_delay_alu instid0(VALU_DEP_4) | instskip(SKIP_2) | instid1(VALU_DEP_4)
	v_add_f64_e32 v[2:3], v[118:119], v[2:3]
	v_fma_f64 v[116:117], v[203:204], s[18:19], -v[116:117]
	v_add_f64_e64 v[118:119], v[60:61], -v[36:37]
	v_add_f64_e32 v[106:107], v[120:121], v[106:107]
	v_add_f64_e64 v[120:121], v[62:63], -v[38:39]
	s_delay_alu instid0(VALU_DEP_4) | instskip(NEXT) | instid1(VALU_DEP_4)
	v_add_f64_e32 v[0:1], v[116:117], v[0:1]
	v_mul_f64_e32 v[116:117], s[26:27], v[118:119]
	v_mul_f64_e32 v[136:137], s[48:49], v[118:119]
	v_mul_f64_e32 v[132:133], s[38:39], v[118:119]
	v_mul_f64_e32 v[128:129], s[30:31], v[118:119]
	v_mul_f64_e32 v[124:125], s[36:37], v[118:119]
	v_mul_f64_e32 v[146:147], s[46:47], v[118:119]
	v_mul_f64_e32 v[253:254], s[26:27], v[120:121]
	v_mul_f64_e32 v[134:135], s[48:49], v[120:121]
	v_mul_f64_e32 v[130:131], s[38:39], v[120:121]
	v_mul_f64_e32 v[126:127], s[30:31], v[120:121]
	v_mul_f64_e32 v[140:141], s[46:47], v[120:121]
	v_fma_f64 v[122:123], v[229:230], s[18:19], v[253:254]
	s_delay_alu instid0(VALU_DEP_1) | instskip(SKIP_1) | instid1(VALU_DEP_1)
	v_add_f64_e32 v[4:5], v[122:123], v[4:5]
	v_fma_f64 v[122:123], v[231:232], s[18:19], -v[116:117]
	v_add_f64_e32 v[6:7], v[122:123], v[6:7]
	v_fma_f64 v[122:123], v[229:230], s[16:17], v[134:135]
	s_delay_alu instid0(VALU_DEP_1) | instskip(SKIP_1) | instid1(VALU_DEP_1)
	v_add_f64_e32 v[8:9], v[122:123], v[8:9]
	v_fma_f64 v[122:123], v[231:232], s[16:17], -v[136:137]
	v_add_f64_e32 v[10:11], v[122:123], v[10:11]
	;; [unrolled: 5-line block ×4, first 2 shown]
	v_mul_f64_e32 v[122:123], s[36:37], v[120:121]
	s_delay_alu instid0(VALU_DEP_1) | instskip(NEXT) | instid1(VALU_DEP_1)
	v_fma_f64 v[138:139], v[229:230], s[14:15], v[122:123]
	v_add_f64_e32 v[88:89], v[138:139], v[88:89]
	v_fma_f64 v[138:139], v[231:232], s[14:15], -v[124:125]
	s_delay_alu instid0(VALU_DEP_1) | instskip(SKIP_1) | instid1(VALU_DEP_1)
	v_add_f64_e32 v[90:91], v[138:139], v[90:91]
	v_fma_f64 v[138:139], v[229:230], s[6:7], v[140:141]
	v_add_f64_e32 v[92:93], v[138:139], v[92:93]
	v_fma_f64 v[138:139], v[231:232], s[6:7], -v[146:147]
	s_delay_alu instid0(VALU_DEP_1) | instskip(SKIP_2) | instid1(VALU_DEP_2)
	v_add_f64_e32 v[94:95], v[138:139], v[94:95]
	v_mul_f64_e32 v[138:139], s[34:35], v[120:121]
	v_mul_f64_e32 v[120:121], s[28:29], v[120:121]
	v_fma_f64 v[142:143], v[229:230], s[22:23], -v[138:139]
	v_fma_f64 v[138:139], v[229:230], s[22:23], v[138:139]
	s_delay_alu instid0(VALU_DEP_2) | instskip(SKIP_1) | instid1(VALU_DEP_3)
	v_add_f64_e32 v[98:99], v[142:143], v[98:99]
	v_mul_f64_e32 v[142:143], s[34:35], v[118:119]
	v_add_f64_e32 v[96:97], v[138:139], v[96:97]
	v_mul_f64_e32 v[118:119], s[28:29], v[118:119]
	s_delay_alu instid0(VALU_DEP_3) | instskip(SKIP_1) | instid1(VALU_DEP_2)
	v_fma_f64 v[138:139], v[231:232], s[22:23], -v[142:143]
	v_fma_f64 v[150:151], v[231:232], s[22:23], v[142:143]
	v_add_f64_e32 v[100:101], v[138:139], v[100:101]
	v_fma_f64 v[138:139], v[229:230], s[10:11], -v[120:121]
	s_delay_alu instid0(VALU_DEP_3) | instskip(SKIP_2) | instid1(VALU_DEP_4)
	v_add_f64_e32 v[102:103], v[150:151], v[102:103]
	v_fma_f64 v[120:121], v[229:230], s[10:11], v[120:121]
	v_add_f64_e64 v[150:151], v[68:69], -v[64:65]
	v_add_f64_e32 v[104:105], v[138:139], v[104:105]
	v_fma_f64 v[138:139], v[231:232], s[10:11], v[118:119]
	v_fma_f64 v[118:119], v[231:232], s[10:11], -v[118:119]
	v_add_f64_e32 v[2:3], v[120:121], v[2:3]
	v_add_f64_e32 v[120:121], v[70:71], v[66:67]
	v_mul_f64_e32 v[142:143], s[30:31], v[150:151]
	v_mul_f64_e32 v[168:169], s[28:29], v[150:151]
	;; [unrolled: 1-line block ×6, first 2 shown]
	v_add_f64_e32 v[106:107], v[138:139], v[106:107]
	v_add_f64_e32 v[0:1], v[118:119], v[0:1]
	;; [unrolled: 1-line block ×3, first 2 shown]
	v_mul_f64_e32 v[138:139], s[30:31], v[152:153]
	s_delay_alu instid0(VALU_DEP_1) | instskip(NEXT) | instid1(VALU_DEP_1)
	v_fma_f64 v[154:155], v[118:119], s[20:21], v[138:139]
	v_add_f64_e32 v[4:5], v[154:155], v[4:5]
	v_fma_f64 v[154:155], v[120:121], s[20:21], -v[142:143]
	s_delay_alu instid0(VALU_DEP_1) | instskip(SKIP_1) | instid1(VALU_DEP_1)
	v_add_f64_e32 v[6:7], v[154:155], v[6:7]
	v_fma_f64 v[154:155], v[118:119], s[10:11], v[166:167]
	v_add_f64_e32 v[187:188], v[154:155], v[8:9]
	v_fma_f64 v[8:9], v[120:121], s[10:11], -v[168:169]
	v_mul_f64_e32 v[154:155], s[38:39], v[152:153]
	v_mul_f64_e32 v[152:153], s[24:25], v[152:153]
	s_delay_alu instid0(VALU_DEP_3) | instskip(SKIP_2) | instid1(VALU_DEP_2)
	v_add_f64_e32 v[189:190], v[8:9], v[10:11]
	v_fma_f64 v[8:9], v[118:119], s[14:15], v[162:163]
	v_fma_f64 v[10:11], v[120:121], s[14:15], -v[164:165]
	v_add_f64_e32 v[8:9], v[8:9], v[80:81]
	v_fma_f64 v[80:81], v[118:119], s[18:19], v[158:159]
	s_delay_alu instid0(VALU_DEP_3) | instskip(SKIP_1) | instid1(VALU_DEP_3)
	v_add_f64_e32 v[10:11], v[10:11], v[82:83]
	v_fma_f64 v[82:83], v[120:121], s[18:19], -v[160:161]
	v_add_f64_e32 v[80:81], v[80:81], v[84:85]
	v_fma_f64 v[84:85], v[118:119], s[0:1], v[154:155]
	s_delay_alu instid0(VALU_DEP_3) | instskip(NEXT) | instid1(VALU_DEP_2)
	v_add_f64_e32 v[82:83], v[82:83], v[86:87]
	v_add_f64_e32 v[88:89], v[84:85], v[88:89]
	v_fma_f64 v[84:85], v[120:121], s[0:1], -v[156:157]
	s_delay_alu instid0(VALU_DEP_1) | instskip(SKIP_1) | instid1(VALU_DEP_1)
	v_add_f64_e32 v[90:91], v[84:85], v[90:91]
	v_fma_f64 v[84:85], v[118:119], s[22:23], v[170:171]
	v_add_f64_e32 v[92:93], v[84:85], v[92:93]
	v_fma_f64 v[84:85], v[120:121], s[22:23], -v[174:175]
	s_delay_alu instid0(VALU_DEP_1) | instskip(SKIP_1) | instid1(VALU_DEP_1)
	v_add_f64_e32 v[94:95], v[84:85], v[94:95]
	v_fma_f64 v[84:85], v[118:119], s[6:7], -v[179:180]
	v_add_f64_e32 v[84:85], v[84:85], v[98:99]
	v_mul_f64_e32 v[98:99], s[40:41], v[150:151]
	v_mul_f64_e32 v[150:151], s[24:25], v[150:151]
	s_delay_alu instid0(VALU_DEP_2) | instskip(SKIP_1) | instid1(VALU_DEP_2)
	v_fma_f64 v[86:87], v[120:121], s[6:7], v[98:99]
	v_fma_f64 v[98:99], v[120:121], s[6:7], -v[98:99]
	v_add_f64_e32 v[86:87], v[86:87], v[102:103]
	s_delay_alu instid0(VALU_DEP_2) | instskip(SKIP_3) | instid1(VALU_DEP_3)
	v_add_f64_e32 v[98:99], v[98:99], v[100:101]
	v_fma_f64 v[100:101], v[118:119], s[16:17], -v[152:153]
	v_fma_f64 v[102:103], v[118:119], s[6:7], v[179:180]
	v_mul_f64_e32 v[179:180], s[34:35], v[209:210]
	v_add_f64_e32 v[100:101], v[100:101], v[104:105]
	v_fma_f64 v[104:105], v[118:119], s[16:17], v[152:153]
	s_delay_alu instid0(VALU_DEP_4) | instskip(SKIP_2) | instid1(VALU_DEP_4)
	v_add_f64_e32 v[96:97], v[102:103], v[96:97]
	v_fma_f64 v[102:103], v[120:121], s[16:17], v[150:151]
	v_add_f64_e32 v[152:153], v[74:75], v[78:79]
	v_add_f64_e32 v[104:105], v[104:105], v[2:3]
	v_fma_f64 v[2:3], v[120:121], s[16:17], -v[150:151]
	v_add_f64_e32 v[150:151], v[72:73], v[76:77]
	v_add_f64_e32 v[102:103], v[102:103], v[106:107]
	s_delay_alu instid0(VALU_DEP_3) | instskip(NEXT) | instid1(VALU_DEP_3)
	v_add_f64_e32 v[106:107], v[2:3], v[0:1]
	v_fma_f64 v[0:1], v[150:151], s[22:23], v[179:180]
	v_fma_f64 v[2:3], v[152:153], s[22:23], -v[181:182]
	s_delay_alu instid0(VALU_DEP_2) | instskip(SKIP_1) | instid1(VALU_DEP_3)
	v_add_f64_e32 v[0:1], v[0:1], v[4:5]
	v_fma_f64 v[4:5], v[150:151], s[0:1], v[183:184]
	v_add_f64_e32 v[2:3], v[2:3], v[6:7]
	v_fma_f64 v[6:7], v[152:153], s[0:1], -v[185:186]
	s_delay_alu instid0(VALU_DEP_3) | instskip(SKIP_1) | instid1(VALU_DEP_3)
	v_add_f64_e32 v[4:5], v[4:5], v[187:188]
	v_mul_f64_e32 v[187:188], s[30:31], v[209:210]
	v_add_f64_e32 v[6:7], v[6:7], v[189:190]
	v_mul_f64_e32 v[189:190], s[30:31], v[199:200]
	s_delay_alu instid0(VALU_DEP_3) | instskip(NEXT) | instid1(VALU_DEP_1)
	v_fma_f64 v[191:192], v[150:151], s[20:21], v[187:188]
	v_add_f64_e32 v[8:9], v[191:192], v[8:9]
	s_delay_alu instid0(VALU_DEP_3) | instskip(NEXT) | instid1(VALU_DEP_1)
	v_fma_f64 v[191:192], v[152:153], s[20:21], -v[189:190]
	v_add_f64_e32 v[10:11], v[191:192], v[10:11]
	v_mul_f64_e32 v[191:192], s[40:41], v[209:210]
	s_delay_alu instid0(VALU_DEP_1) | instskip(NEXT) | instid1(VALU_DEP_1)
	v_fma_f64 v[195:196], v[150:151], s[6:7], v[191:192]
	v_add_f64_e32 v[80:81], v[195:196], v[80:81]
	v_fma_f64 v[195:196], v[152:153], s[6:7], -v[193:194]
	s_delay_alu instid0(VALU_DEP_1) | instskip(SKIP_1) | instid1(VALU_DEP_1)
	v_add_f64_e32 v[82:83], v[195:196], v[82:83]
	v_mul_f64_e32 v[195:196], s[26:27], v[209:210]
	v_fma_f64 v[205:206], v[150:151], s[18:19], v[195:196]
	s_delay_alu instid0(VALU_DEP_1) | instskip(SKIP_1) | instid1(VALU_DEP_1)
	v_add_f64_e32 v[88:89], v[205:206], v[88:89]
	v_fma_f64 v[205:206], v[152:153], s[18:19], -v[197:198]
	v_add_f64_e32 v[90:91], v[205:206], v[90:91]
	v_mul_f64_e32 v[205:206], s[28:29], v[209:210]
	s_delay_alu instid0(VALU_DEP_1) | instskip(NEXT) | instid1(VALU_DEP_1)
	v_fma_f64 v[211:212], v[150:151], s[10:11], v[205:206]
	v_add_f64_e32 v[92:93], v[211:212], v[92:93]
	v_fma_f64 v[211:212], v[152:153], s[10:11], -v[207:208]
	s_delay_alu instid0(VALU_DEP_1) | instskip(SKIP_2) | instid1(VALU_DEP_2)
	v_add_f64_e32 v[94:95], v[211:212], v[94:95]
	v_mul_f64_e32 v[211:212], s[24:25], v[209:210]
	v_mul_f64_e32 v[209:210], s[36:37], v[209:210]
	v_fma_f64 v[213:214], v[150:151], s[16:17], -v[211:212]
	v_fma_f64 v[211:212], v[150:151], s[16:17], v[211:212]
	s_delay_alu instid0(VALU_DEP_2) | instskip(SKIP_1) | instid1(VALU_DEP_3)
	v_add_f64_e32 v[84:85], v[213:214], v[84:85]
	v_mul_f64_e32 v[213:214], s[24:25], v[199:200]
	v_add_f64_e32 v[96:97], v[211:212], v[96:97]
	v_mul_f64_e32 v[199:200], s[36:37], v[199:200]
	s_delay_alu instid0(VALU_DEP_3) | instskip(SKIP_1) | instid1(VALU_DEP_2)
	v_fma_f64 v[211:212], v[152:153], s[16:17], -v[213:214]
	v_fma_f64 v[215:216], v[152:153], s[16:17], v[213:214]
	v_add_f64_e32 v[98:99], v[211:212], v[98:99]
	v_fma_f64 v[211:212], v[150:151], s[14:15], -v[209:210]
	v_fma_f64 v[209:210], v[150:151], s[14:15], v[209:210]
	s_delay_alu instid0(VALU_DEP_4) | instskip(NEXT) | instid1(VALU_DEP_3)
	v_add_f64_e32 v[86:87], v[215:216], v[86:87]
	v_add_f64_e32 v[100:101], v[211:212], v[100:101]
	v_fma_f64 v[211:212], v[152:153], s[14:15], v[199:200]
	v_fma_f64 v[199:200], v[152:153], s[14:15], -v[199:200]
	v_add_f64_e32 v[104:105], v[209:210], v[104:105]
	s_delay_alu instid0(VALU_DEP_3) | instskip(NEXT) | instid1(VALU_DEP_3)
	v_add_f64_e32 v[102:103], v[211:212], v[102:103]
	v_add_f64_e32 v[106:107], v[199:200], v[106:107]
	s_and_saveexec_b32 s24, vcc_lo
	s_cbranch_execz .LBB0_7
; %bb.6:
	v_add_f64_e32 v[42:43], v[14:15], v[42:43]
	v_add_f64_e32 v[40:41], v[12:13], v[40:41]
	s_delay_alu instid0(VALU_DEP_2) | instskip(NEXT) | instid1(VALU_DEP_2)
	v_add_f64_e32 v[42:43], v[42:43], v[46:47]
	v_add_f64_e32 v[40:41], v[40:41], v[44:45]
	scratch_load_b64 v[44:45], off, off offset:16 th:TH_LOAD_LU ; 8-byte Folded Reload
	v_add_f64_e32 v[42:43], v[42:43], v[50:51]
	v_add_f64_e32 v[40:41], v[40:41], v[48:49]
	v_mul_f64_e32 v[48:49], s[0:1], v[144:145]
	scratch_load_b64 v[50:51], off, off offset:320 th:TH_LOAD_LU ; 8-byte Folded Reload
	v_add_f64_e32 v[42:43], v[42:43], v[54:55]
	v_add_f64_e32 v[40:41], v[40:41], v[52:53]
	scratch_load_b64 v[52:53], off, off offset:224 th:TH_LOAD_LU ; 8-byte Folded Reload
	v_mul_f64_e32 v[54:55], s[14:15], v[201:202]
	v_add_f64_e32 v[42:43], v[42:43], v[58:59]
	v_add_f64_e32 v[40:41], v[40:41], v[56:57]
	v_mul_f64_e32 v[56:57], s[6:7], v[231:232]
	s_delay_alu instid0(VALU_DEP_4) | instskip(NEXT) | instid1(VALU_DEP_4)
	v_add_f64_e64 v[54:55], v[54:55], -v[249:250]
	v_add_f64_e32 v[42:43], v[42:43], v[62:63]
	s_delay_alu instid0(VALU_DEP_4) | instskip(NEXT) | instid1(VALU_DEP_4)
	v_add_f64_e32 v[40:41], v[40:41], v[60:61]
	v_add_f64_e32 v[56:57], v[146:147], v[56:57]
	s_delay_alu instid0(VALU_DEP_3) | instskip(NEXT) | instid1(VALU_DEP_3)
	v_add_f64_e32 v[42:43], v[42:43], v[70:71]
	v_add_f64_e32 v[40:41], v[40:41], v[68:69]
	s_delay_alu instid0(VALU_DEP_2) | instskip(NEXT) | instid1(VALU_DEP_2)
	v_add_f64_e32 v[42:43], v[42:43], v[74:75]
	v_add_f64_e32 v[40:41], v[40:41], v[72:73]
	s_delay_alu instid0(VALU_DEP_2) | instskip(NEXT) | instid1(VALU_DEP_2)
	;; [unrolled: 3-line block ×4, first 2 shown]
	v_add_f64_e32 v[38:39], v[42:43], v[38:39]
	v_add_f64_e32 v[36:37], v[40:41], v[36:37]
	s_clause 0x1
	scratch_load_b64 v[40:41], off, off offset:32 th:TH_LOAD_LU
	scratch_load_b64 v[42:43], off, off offset:24 th:TH_LOAD_LU
	s_wait_loadcnt 0x3
	v_add_f64_e64 v[48:49], v[48:49], -v[50:51]
	v_mul_f64_e32 v[50:51], s[16:17], v[108:109]
	v_add_f64_e32 v[34:35], v[38:39], v[34:35]
	v_add_f64_e32 v[32:33], v[36:37], v[32:33]
	s_clause 0x1
	scratch_load_b64 v[36:37], off, off offset:64 th:TH_LOAD_LU
	scratch_load_b64 v[38:39], off, off offset:48 th:TH_LOAD_LU
	s_wait_loadcnt 0x4
	v_add_f64_e64 v[50:51], v[50:51], -v[52:53]
	v_mul_f64_e32 v[52:53], s[14:15], v[203:204]
	v_add_f64_e32 v[30:31], v[34:35], v[30:31]
	v_add_f64_e32 v[28:29], v[32:33], v[28:29]
	s_clause 0x1
	scratch_load_b64 v[32:33], off, off offset:96 th:TH_LOAD_LU
	scratch_load_b64 v[34:35], off, off offset:80 th:TH_LOAD_LU
	v_add_f64_e32 v[52:53], v[251:252], v[52:53]
	v_add_f64_e32 v[26:27], v[30:31], v[26:27]
	;; [unrolled: 1-line block ×3, first 2 shown]
	s_clause 0x1
	scratch_load_b64 v[28:29], off, off offset:112 th:TH_LOAD_LU
	scratch_load_b64 v[30:31], off, off offset:104 th:TH_LOAD_LU
	v_add_f64_e32 v[22:23], v[26:27], v[22:23]
	v_add_f64_e32 v[20:21], v[24:25], v[20:21]
	s_clause 0x1
	scratch_load_b64 v[24:25], off, off offset:128 th:TH_LOAD_LU
	scratch_load_b64 v[26:27], off, off offset:120 th:TH_LOAD_LU
	v_add_f64_e32 v[18:19], v[22:23], v[18:19]
	scratch_load_b64 v[22:23], off, off offset:136 th:TH_LOAD_LU ; 8-byte Folded Reload
	v_add_f64_e32 v[16:17], v[20:21], v[16:17]
	v_mul_f64_e32 v[20:21], s[18:19], v[114:115]
	s_wait_loadcnt 0x0
	s_delay_alu instid0(VALU_DEP_1) | instskip(SKIP_1) | instid1(VALU_DEP_2)
	v_add_f64_e32 v[20:21], v[22:23], v[20:21]
	v_mul_f64_e32 v[22:23], s[18:19], v[112:113]
	v_add_f64_e32 v[20:21], v[14:15], v[20:21]
	s_delay_alu instid0(VALU_DEP_2) | instskip(SKIP_1) | instid1(VALU_DEP_2)
	v_add_f64_e64 v[22:23], v[22:23], -v[24:25]
	v_mul_f64_e32 v[24:25], s[16:17], v[114:115]
	v_add_f64_e32 v[22:23], v[12:13], v[22:23]
	s_delay_alu instid0(VALU_DEP_2) | instskip(SKIP_1) | instid1(VALU_DEP_3)
	v_add_f64_e32 v[24:25], v[26:27], v[24:25]
	v_mul_f64_e32 v[26:27], s[16:17], v[112:113]
	v_add_f64_e32 v[22:23], v[50:51], v[22:23]
	scratch_load_b64 v[50:51], off, off offset:304 th:TH_LOAD_LU ; 8-byte Folded Reload
	v_add_f64_e64 v[26:27], v[26:27], -v[28:29]
	v_mul_f64_e32 v[28:29], s[14:15], v[114:115]
	s_delay_alu instid0(VALU_DEP_2) | instskip(NEXT) | instid1(VALU_DEP_2)
	v_add_f64_e32 v[46:47], v[12:13], v[26:27]
	v_add_f64_e32 v[28:29], v[30:31], v[28:29]
	v_mul_f64_e32 v[30:31], s[14:15], v[112:113]
	s_delay_alu instid0(VALU_DEP_2) | instskip(NEXT) | instid1(VALU_DEP_2)
	v_add_f64_e32 v[28:29], v[14:15], v[28:29]
	v_add_f64_e64 v[30:31], v[30:31], -v[32:33]
	v_mul_f64_e32 v[32:33], s[10:11], v[114:115]
	s_delay_alu instid0(VALU_DEP_2) | instskip(NEXT) | instid1(VALU_DEP_2)
	v_add_f64_e32 v[30:31], v[12:13], v[30:31]
	v_add_f64_e32 v[32:33], v[34:35], v[32:33]
	v_mul_f64_e32 v[34:35], s[10:11], v[112:113]
	s_delay_alu instid0(VALU_DEP_1) | instskip(SKIP_1) | instid1(VALU_DEP_2)
	v_add_f64_e64 v[34:35], v[34:35], -v[36:37]
	v_mul_f64_e32 v[36:37], s[6:7], v[114:115]
	v_add_f64_e32 v[26:27], v[12:13], v[34:35]
	s_delay_alu instid0(VALU_DEP_2) | instskip(SKIP_1) | instid1(VALU_DEP_1)
	v_add_f64_e32 v[36:37], v[38:39], v[36:37]
	v_mul_f64_e32 v[38:39], s[6:7], v[112:113]
	v_add_f64_e64 v[38:39], v[38:39], -v[40:41]
	v_mul_f64_e32 v[40:41], s[0:1], v[114:115]
	s_delay_alu instid0(VALU_DEP_2) | instskip(NEXT) | instid1(VALU_DEP_2)
	v_add_f64_e32 v[34:35], v[12:13], v[38:39]
	v_add_f64_e32 v[40:41], v[42:43], v[40:41]
	v_mul_f64_e32 v[42:43], s[0:1], v[112:113]
	s_delay_alu instid0(VALU_DEP_1)
	v_add_f64_e64 v[42:43], v[42:43], -v[44:45]
	v_add_f64_e32 v[44:45], v[14:15], v[24:25]
	v_add_f64_e32 v[24:25], v[14:15], v[32:33]
	;; [unrolled: 1-line block ×4, first 2 shown]
	scratch_load_b64 v[40:41], off, off offset:328 th:TH_LOAD_LU ; 8-byte Folded Reload
	v_mul_f64_e32 v[14:15], s[0:1], v[148:149]
	v_add_f64_e32 v[38:39], v[12:13], v[42:43]
	scratch_load_b64 v[42:43], off, off offset:232 th:TH_LOAD_LU ; 8-byte Folded Reload
	v_mul_f64_e32 v[12:13], s[20:21], v[177:178]
	s_delay_alu instid0(VALU_DEP_1) | instskip(SKIP_4) | instid1(VALU_DEP_1)
	v_add_f64_e32 v[12:13], v[227:228], v[12:13]
	s_wait_loadcnt 0x1
	v_add_f64_e32 v[14:15], v[40:41], v[14:15]
	v_mul_f64_e32 v[40:41], s[16:17], v[110:111]
	s_wait_loadcnt 0x0
	v_add_f64_e32 v[40:41], v[42:43], v[40:41]
	v_mul_f64_e32 v[42:43], s[20:21], v[172:173]
	s_delay_alu instid0(VALU_DEP_2) | instskip(NEXT) | instid1(VALU_DEP_2)
	v_add_f64_e32 v[20:21], v[40:41], v[20:21]
	v_add_f64_e64 v[42:43], v[42:43], -v[221:222]
	v_mul_f64_e32 v[40:41], s[6:7], v[229:230]
	s_delay_alu instid0(VALU_DEP_3) | instskip(SKIP_1) | instid1(VALU_DEP_3)
	v_add_f64_e32 v[14:15], v[14:15], v[20:21]
	v_add_f64_e32 v[20:21], v[48:49], v[22:23]
	v_add_f64_e64 v[40:41], v[40:41], -v[140:141]
	v_mul_f64_e32 v[22:23], s[22:23], v[120:121]
	v_mul_f64_e32 v[48:49], s[18:19], v[144:145]
	v_add_f64_e32 v[12:13], v[12:13], v[14:15]
	v_add_f64_e32 v[14:15], v[42:43], v[20:21]
	v_mul_f64_e32 v[20:21], s[22:23], v[118:119]
	v_add_f64_e32 v[22:23], v[174:175], v[22:23]
	v_mul_f64_e32 v[42:43], s[10:11], v[152:153]
	v_add_f64_e64 v[48:49], v[48:49], -v[50:51]
	v_mul_f64_e32 v[50:51], s[14:15], v[108:109]
	v_add_f64_e32 v[12:13], v[52:53], v[12:13]
	v_add_f64_e32 v[14:15], v[54:55], v[14:15]
	v_add_f64_e64 v[20:21], v[20:21], -v[170:171]
	scratch_load_b64 v[52:53], off, off offset:208 th:TH_LOAD_LU ; 8-byte Folded Reload
	v_add_f64_e32 v[42:43], v[207:208], v[42:43]
	v_mul_f64_e32 v[54:55], s[20:21], v[201:202]
	v_add_f64_e32 v[12:13], v[56:57], v[12:13]
	v_add_f64_e32 v[14:15], v[40:41], v[14:15]
	v_mul_f64_e32 v[40:41], s[10:11], v[150:151]
	v_mul_f64_e32 v[56:57], s[16:17], v[231:232]
	v_add_f64_e64 v[54:55], v[54:55], -v[245:246]
	v_add_f64_e32 v[12:13], v[22:23], v[12:13]
	v_add_f64_e32 v[20:21], v[20:21], v[14:15]
	v_add_f64_e64 v[40:41], v[40:41], -v[205:206]
	v_mul_f64_e32 v[22:23], s[18:19], v[148:149]
	v_add_f64_e32 v[56:57], v[136:137], v[56:57]
	v_add_f64_e32 v[14:15], v[42:43], v[12:13]
	scratch_load_b64 v[42:43], off, off offset:216 th:TH_LOAD_LU ; 8-byte Folded Reload
	v_add_f64_e32 v[12:13], v[40:41], v[20:21]
	scratch_load_b64 v[40:41], off, off offset:312 th:TH_LOAD_LU ; 8-byte Folded Reload
	v_mul_f64_e32 v[20:21], s[22:23], v[177:178]
	s_delay_alu instid0(VALU_DEP_1) | instskip(SKIP_3) | instid1(VALU_DEP_2)
	v_add_f64_e32 v[20:21], v[219:220], v[20:21]
	s_wait_loadcnt 0x2
	v_add_f64_e64 v[50:51], v[50:51], -v[52:53]
	v_mul_f64_e32 v[52:53], s[20:21], v[203:204]
	v_add_f64_e32 v[34:35], v[50:51], v[34:35]
	s_delay_alu instid0(VALU_DEP_2) | instskip(SKIP_4) | instid1(VALU_DEP_1)
	v_add_f64_e32 v[52:53], v[247:248], v[52:53]
	scratch_load_b64 v[50:51], off, off offset:288 th:TH_LOAD_LU ; 8-byte Folded Reload
	s_wait_loadcnt 0x1
	v_add_f64_e32 v[22:23], v[40:41], v[22:23]
	v_mul_f64_e32 v[40:41], s[14:15], v[110:111]
	v_add_f64_e32 v[40:41], v[42:43], v[40:41]
	v_mul_f64_e32 v[42:43], s[22:23], v[172:173]
	s_delay_alu instid0(VALU_DEP_2) | instskip(NEXT) | instid1(VALU_DEP_2)
	v_add_f64_e32 v[32:33], v[40:41], v[32:33]
	v_add_f64_e64 v[42:43], v[42:43], -v[217:218]
	v_mul_f64_e32 v[40:41], s[16:17], v[229:230]
	s_delay_alu instid0(VALU_DEP_3) | instskip(SKIP_1) | instid1(VALU_DEP_3)
	v_add_f64_e32 v[22:23], v[22:23], v[32:33]
	v_add_f64_e32 v[32:33], v[48:49], v[34:35]
	v_add_f64_e64 v[40:41], v[40:41], -v[134:135]
	v_mul_f64_e32 v[34:35], s[10:11], v[120:121]
	scratch_load_b64 v[48:49], off, off offset:384 th:TH_LOAD_LU ; 8-byte Folded Reload
	v_add_f64_e32 v[20:21], v[20:21], v[22:23]
	v_add_f64_e32 v[22:23], v[42:43], v[32:33]
	v_mul_f64_e32 v[32:33], s[10:11], v[118:119]
	v_add_f64_e32 v[34:35], v[168:169], v[34:35]
	v_mul_f64_e32 v[42:43], s[0:1], v[152:153]
	v_add_f64_e32 v[20:21], v[52:53], v[20:21]
	v_add_f64_e32 v[22:23], v[54:55], v[22:23]
	v_add_f64_e64 v[32:33], v[32:33], -v[166:167]
	scratch_load_b64 v[52:53], off, off offset:192 th:TH_LOAD_LU ; 8-byte Folded Reload
	v_add_f64_e32 v[42:43], v[185:186], v[42:43]
	v_mul_f64_e32 v[54:55], s[6:7], v[201:202]
	v_add_f64_e32 v[20:21], v[56:57], v[20:21]
	v_add_f64_e32 v[22:23], v[40:41], v[22:23]
	v_mul_f64_e32 v[40:41], s[0:1], v[150:151]
	v_mul_f64_e32 v[56:57], s[0:1], v[231:232]
	v_add_f64_e64 v[54:55], v[54:55], -v[241:242]
	v_add_f64_e32 v[20:21], v[34:35], v[20:21]
	v_add_f64_e32 v[32:33], v[32:33], v[22:23]
	v_add_f64_e64 v[40:41], v[40:41], -v[183:184]
	scratch_load_b64 v[34:35], off, off offset:392 th:TH_LOAD_LU ; 8-byte Folded Reload
	v_add_f64_e32 v[56:57], v[132:133], v[56:57]
	v_add_f64_e32 v[22:23], v[42:43], v[20:21]
	scratch_load_b64 v[42:43], off, off offset:200 th:TH_LOAD_LU ; 8-byte Folded Reload
	v_add_f64_e32 v[20:21], v[40:41], v[32:33]
	scratch_load_b64 v[40:41], off, off offset:296 th:TH_LOAD_LU ; 8-byte Folded Reload
	v_mul_f64_e32 v[32:33], s[16:17], v[177:178]
	s_wait_loadcnt 0x2
	s_delay_alu instid0(VALU_DEP_1) | instskip(SKIP_2) | instid1(VALU_DEP_1)
	v_add_f64_e32 v[32:33], v[34:35], v[32:33]
	v_mul_f64_e32 v[34:35], s[22:23], v[148:149]
	s_wait_loadcnt 0x0
	v_add_f64_e32 v[34:35], v[40:41], v[34:35]
	v_mul_f64_e32 v[40:41], s[18:19], v[110:111]
	s_delay_alu instid0(VALU_DEP_1) | instskip(SKIP_1) | instid1(VALU_DEP_2)
	v_add_f64_e32 v[40:41], v[42:43], v[40:41]
	v_mul_f64_e32 v[42:43], s[16:17], v[172:173]
	v_add_f64_e32 v[24:25], v[40:41], v[24:25]
	s_delay_alu instid0(VALU_DEP_2) | instskip(SKIP_2) | instid1(VALU_DEP_4)
	v_add_f64_e64 v[42:43], v[42:43], -v[48:49]
	v_mul_f64_e32 v[48:49], s[22:23], v[144:145]
	v_mul_f64_e32 v[40:41], s[0:1], v[229:230]
	v_add_f64_e32 v[24:25], v[34:35], v[24:25]
	v_mul_f64_e32 v[34:35], s[14:15], v[120:121]
	s_delay_alu instid0(VALU_DEP_4)
	v_add_f64_e64 v[48:49], v[48:49], -v[50:51]
	v_mul_f64_e32 v[50:51], s[18:19], v[108:109]
	v_add_f64_e64 v[40:41], v[40:41], -v[130:131]
	v_add_f64_e32 v[24:25], v[32:33], v[24:25]
	v_mul_f64_e32 v[32:33], s[14:15], v[118:119]
	v_add_f64_e32 v[34:35], v[164:165], v[34:35]
	v_add_f64_e64 v[50:51], v[50:51], -v[52:53]
	v_mul_f64_e32 v[52:53], s[6:7], v[203:204]
	s_delay_alu instid0(VALU_DEP_4) | instskip(NEXT) | instid1(VALU_DEP_3)
	v_add_f64_e64 v[32:33], v[32:33], -v[162:163]
	v_add_f64_e32 v[26:27], v[50:51], v[26:27]
	s_delay_alu instid0(VALU_DEP_3)
	v_add_f64_e32 v[52:53], v[243:244], v[52:53]
	scratch_load_b64 v[50:51], off, off offset:272 th:TH_LOAD_LU ; 8-byte Folded Reload
	v_add_f64_e32 v[26:27], v[48:49], v[26:27]
	v_add_f64_e32 v[24:25], v[52:53], v[24:25]
	s_clause 0x1
	scratch_load_b64 v[48:49], off, off offset:368 th:TH_LOAD_LU
	scratch_load_b64 v[52:53], off, off offset:176 th:TH_LOAD_LU
	v_add_f64_e32 v[26:27], v[42:43], v[26:27]
	v_mul_f64_e32 v[42:43], s[20:21], v[152:153]
	v_add_f64_e32 v[24:25], v[56:57], v[24:25]
	v_mul_f64_e32 v[56:57], s[20:21], v[231:232]
	s_delay_alu instid0(VALU_DEP_4) | instskip(NEXT) | instid1(VALU_DEP_4)
	v_add_f64_e32 v[26:27], v[54:55], v[26:27]
	v_add_f64_e32 v[42:43], v[189:190], v[42:43]
	s_delay_alu instid0(VALU_DEP_4)
	v_add_f64_e32 v[24:25], v[34:35], v[24:25]
	scratch_load_b64 v[34:35], off, off offset:376 th:TH_LOAD_LU ; 8-byte Folded Reload
	v_mul_f64_e32 v[54:55], s[10:11], v[201:202]
	v_add_f64_e32 v[56:57], v[128:129], v[56:57]
	v_add_f64_e32 v[26:27], v[40:41], v[26:27]
	v_mul_f64_e32 v[40:41], s[20:21], v[150:151]
	s_delay_alu instid0(VALU_DEP_4) | instskip(NEXT) | instid1(VALU_DEP_3)
	v_add_f64_e64 v[54:55], v[54:55], -v[237:238]
	v_add_f64_e32 v[32:33], v[32:33], v[26:27]
	s_delay_alu instid0(VALU_DEP_3)
	v_add_f64_e64 v[40:41], v[40:41], -v[187:188]
	v_add_f64_e32 v[26:27], v[42:43], v[24:25]
	scratch_load_b64 v[42:43], off, off offset:184 th:TH_LOAD_LU ; 8-byte Folded Reload
	v_add_f64_e32 v[24:25], v[40:41], v[32:33]
	scratch_load_b64 v[40:41], off, off offset:280 th:TH_LOAD_LU ; 8-byte Folded Reload
	v_mul_f64_e32 v[32:33], s[0:1], v[177:178]
	s_wait_loadcnt 0x2
	s_delay_alu instid0(VALU_DEP_1) | instskip(SKIP_2) | instid1(VALU_DEP_1)
	v_add_f64_e32 v[32:33], v[34:35], v[32:33]
	v_mul_f64_e32 v[34:35], s[16:17], v[148:149]
	s_wait_loadcnt 0x0
	v_add_f64_e32 v[34:35], v[40:41], v[34:35]
	v_mul_f64_e32 v[40:41], s[22:23], v[110:111]
	s_delay_alu instid0(VALU_DEP_1) | instskip(SKIP_1) | instid1(VALU_DEP_2)
	v_add_f64_e32 v[40:41], v[42:43], v[40:41]
	v_mul_f64_e32 v[42:43], s[0:1], v[172:173]
	v_add_f64_e32 v[28:29], v[40:41], v[28:29]
	s_delay_alu instid0(VALU_DEP_2) | instskip(SKIP_2) | instid1(VALU_DEP_4)
	v_add_f64_e64 v[42:43], v[42:43], -v[48:49]
	v_mul_f64_e32 v[48:49], s[16:17], v[144:145]
	v_mul_f64_e32 v[40:41], s[20:21], v[229:230]
	v_add_f64_e32 v[28:29], v[34:35], v[28:29]
	v_mul_f64_e32 v[34:35], s[18:19], v[120:121]
	s_delay_alu instid0(VALU_DEP_4)
	v_add_f64_e64 v[48:49], v[48:49], -v[50:51]
	v_mul_f64_e32 v[50:51], s[22:23], v[108:109]
	v_add_f64_e64 v[40:41], v[40:41], -v[126:127]
	v_add_f64_e32 v[28:29], v[32:33], v[28:29]
	v_mul_f64_e32 v[32:33], s[18:19], v[118:119]
	v_add_f64_e32 v[34:35], v[160:161], v[34:35]
	v_add_f64_e64 v[50:51], v[50:51], -v[52:53]
	v_mul_f64_e32 v[52:53], s[10:11], v[203:204]
	s_delay_alu instid0(VALU_DEP_4) | instskip(NEXT) | instid1(VALU_DEP_3)
	v_add_f64_e64 v[32:33], v[32:33], -v[158:159]
	v_add_f64_e32 v[30:31], v[50:51], v[30:31]
	s_delay_alu instid0(VALU_DEP_3)
	v_add_f64_e32 v[52:53], v[239:240], v[52:53]
	scratch_load_b64 v[50:51], off, off offset:256 th:TH_LOAD_LU ; 8-byte Folded Reload
	v_add_f64_e32 v[30:31], v[48:49], v[30:31]
	v_add_f64_e32 v[28:29], v[52:53], v[28:29]
	s_clause 0x1
	scratch_load_b64 v[48:49], off, off offset:352 th:TH_LOAD_LU
	scratch_load_b64 v[52:53], off, off offset:160 th:TH_LOAD_LU
	v_add_f64_e32 v[30:31], v[42:43], v[30:31]
	v_mul_f64_e32 v[42:43], s[6:7], v[152:153]
	v_add_f64_e32 v[28:29], v[56:57], v[28:29]
	v_mul_f64_e32 v[56:57], s[14:15], v[231:232]
	s_delay_alu instid0(VALU_DEP_4) | instskip(NEXT) | instid1(VALU_DEP_4)
	v_add_f64_e32 v[30:31], v[54:55], v[30:31]
	v_add_f64_e32 v[42:43], v[193:194], v[42:43]
	s_delay_alu instid0(VALU_DEP_4)
	v_add_f64_e32 v[28:29], v[34:35], v[28:29]
	scratch_load_b64 v[34:35], off, off offset:360 th:TH_LOAD_LU ; 8-byte Folded Reload
	v_mul_f64_e32 v[54:55], s[22:23], v[201:202]
	v_add_f64_e32 v[56:57], v[124:125], v[56:57]
	v_add_f64_e32 v[30:31], v[40:41], v[30:31]
	v_mul_f64_e32 v[40:41], s[6:7], v[150:151]
	s_delay_alu instid0(VALU_DEP_4) | instskip(NEXT) | instid1(VALU_DEP_3)
	v_add_f64_e64 v[54:55], v[54:55], -v[233:234]
	v_add_f64_e32 v[32:33], v[32:33], v[30:31]
	s_delay_alu instid0(VALU_DEP_3)
	v_add_f64_e64 v[40:41], v[40:41], -v[191:192]
	v_add_f64_e32 v[30:31], v[42:43], v[28:29]
	scratch_load_b64 v[42:43], off, off offset:168 th:TH_LOAD_LU ; 8-byte Folded Reload
	v_add_f64_e32 v[28:29], v[40:41], v[32:33]
	scratch_load_b64 v[40:41], off, off offset:264 th:TH_LOAD_LU ; 8-byte Folded Reload
	v_mul_f64_e32 v[32:33], s[10:11], v[177:178]
	s_wait_loadcnt 0x2
	s_delay_alu instid0(VALU_DEP_1) | instskip(SKIP_2) | instid1(VALU_DEP_1)
	v_add_f64_e32 v[32:33], v[34:35], v[32:33]
	v_mul_f64_e32 v[34:35], s[6:7], v[148:149]
	s_wait_loadcnt 0x0
	v_add_f64_e32 v[34:35], v[40:41], v[34:35]
	v_mul_f64_e32 v[40:41], s[20:21], v[110:111]
	s_delay_alu instid0(VALU_DEP_1) | instskip(SKIP_1) | instid1(VALU_DEP_2)
	v_add_f64_e32 v[40:41], v[42:43], v[40:41]
	v_mul_f64_e32 v[42:43], s[10:11], v[172:173]
	v_add_f64_e32 v[40:41], v[40:41], v[44:45]
	s_delay_alu instid0(VALU_DEP_2) | instskip(SKIP_1) | instid1(VALU_DEP_3)
	v_add_f64_e64 v[42:43], v[42:43], -v[48:49]
	v_mul_f64_e32 v[48:49], s[6:7], v[144:145]
	v_add_f64_e32 v[34:35], v[34:35], v[40:41]
	s_delay_alu instid0(VALU_DEP_2) | instskip(SKIP_1) | instid1(VALU_DEP_3)
	v_add_f64_e64 v[48:49], v[48:49], -v[50:51]
	v_mul_f64_e32 v[50:51], s[20:21], v[108:109]
	v_add_f64_e32 v[32:33], v[32:33], v[34:35]
	s_delay_alu instid0(VALU_DEP_2) | instskip(SKIP_1) | instid1(VALU_DEP_2)
	v_add_f64_e64 v[50:51], v[50:51], -v[52:53]
	v_mul_f64_e32 v[52:53], s[22:23], v[203:204]
	v_add_f64_e32 v[44:45], v[50:51], v[46:47]
	s_delay_alu instid0(VALU_DEP_2)
	v_add_f64_e32 v[52:53], v[235:236], v[52:53]
	v_mul_f64_e32 v[46:47], s[14:15], v[229:230]
	scratch_load_b64 v[50:51], off, off offset:240 th:TH_LOAD_LU ; 8-byte Folded Reload
	v_add_f64_e32 v[40:41], v[48:49], v[44:45]
	v_mul_f64_e32 v[44:45], s[0:1], v[120:121]
	v_add_f64_e32 v[32:33], v[52:53], v[32:33]
	v_add_f64_e64 v[46:47], v[46:47], -v[122:123]
	s_clause 0x1
	scratch_load_b64 v[48:49], off, off offset:144 th:TH_LOAD_LU
	scratch_load_b64 v[52:53], off, off offset:336 th:TH_LOAD_LU
	v_add_f64_e32 v[34:35], v[42:43], v[40:41]
	v_add_f64_e32 v[44:45], v[156:157], v[44:45]
	v_mul_f64_e32 v[40:41], s[0:1], v[118:119]
	v_mul_f64_e32 v[42:43], s[18:19], v[152:153]
	v_add_f64_e32 v[32:33], v[56:57], v[32:33]
	v_mul_f64_e32 v[56:57], s[18:19], v[231:232]
	v_add_f64_e32 v[34:35], v[54:55], v[34:35]
	v_mul_f64_e32 v[54:55], s[16:17], v[201:202]
	v_add_f64_e64 v[40:41], v[40:41], -v[154:155]
	v_add_f64_e32 v[42:43], v[197:198], v[42:43]
	v_add_f64_e32 v[32:33], v[44:45], v[32:33]
	scratch_load_b64 v[44:45], off, off offset:248 th:TH_LOAD_LU ; 8-byte Folded Reload
	v_add_f64_e32 v[56:57], v[116:117], v[56:57]
	v_add_f64_e32 v[34:35], v[46:47], v[34:35]
	v_mul_f64_e32 v[46:47], s[18:19], v[150:151]
	v_add_f64_e64 v[54:55], v[54:55], -v[223:224]
	s_delay_alu instid0(VALU_DEP_3) | instskip(SKIP_3) | instid1(VALU_DEP_1)
	v_add_f64_e32 v[40:41], v[40:41], v[34:35]
	v_add_f64_e32 v[34:35], v[42:43], v[32:33]
	scratch_load_b64 v[42:43], off, off offset:344 th:TH_LOAD_LU ; 8-byte Folded Reload
	v_add_f64_e64 v[46:47], v[46:47], -v[195:196]
	v_add_f64_e32 v[32:33], v[46:47], v[40:41]
	scratch_load_b64 v[46:47], off, off offset:152 th:TH_LOAD_LU ; 8-byte Folded Reload
	v_mul_f64_e32 v[40:41], s[14:15], v[177:178]
	s_wait_loadcnt 0x1
	s_delay_alu instid0(VALU_DEP_1) | instskip(SKIP_1) | instid1(VALU_DEP_1)
	v_add_f64_e32 v[40:41], v[42:43], v[40:41]
	v_mul_f64_e32 v[42:43], s[10:11], v[148:149]
	v_add_f64_e32 v[42:43], v[44:45], v[42:43]
	v_mul_f64_e32 v[44:45], s[6:7], v[110:111]
	s_wait_loadcnt 0x0
	s_delay_alu instid0(VALU_DEP_1) | instskip(SKIP_1) | instid1(VALU_DEP_2)
	v_add_f64_e32 v[44:45], v[46:47], v[44:45]
	v_mul_f64_e32 v[46:47], s[6:7], v[108:109]
	v_add_f64_e32 v[36:37], v[44:45], v[36:37]
	s_delay_alu instid0(VALU_DEP_2) | instskip(SKIP_2) | instid1(VALU_DEP_4)
	v_add_f64_e64 v[46:47], v[46:47], -v[48:49]
	v_mul_f64_e32 v[48:49], s[10:11], v[144:145]
	v_mul_f64_e32 v[44:45], s[18:19], v[229:230]
	v_add_f64_e32 v[36:37], v[42:43], v[36:37]
	s_delay_alu instid0(VALU_DEP_4) | instskip(NEXT) | instid1(VALU_DEP_4)
	v_add_f64_e32 v[38:39], v[46:47], v[38:39]
	v_add_f64_e64 v[48:49], v[48:49], -v[50:51]
	v_mul_f64_e32 v[50:51], s[14:15], v[172:173]
	v_add_f64_e64 v[44:45], v[44:45], -v[253:254]
	v_mul_f64_e32 v[42:43], s[20:21], v[120:121]
	v_mul_f64_e32 v[46:47], s[22:23], v[152:153]
	v_add_f64_e32 v[36:37], v[40:41], v[36:37]
	v_mul_f64_e32 v[40:41], s[20:21], v[118:119]
	v_add_f64_e32 v[38:39], v[48:49], v[38:39]
	v_add_f64_e64 v[50:51], v[50:51], -v[52:53]
	v_mul_f64_e32 v[52:53], s[16:17], v[203:204]
	v_add_f64_e32 v[42:43], v[142:143], v[42:43]
	v_add_f64_e32 v[46:47], v[181:182], v[46:47]
	v_add_f64_e64 v[40:41], v[40:41], -v[138:139]
	v_add_f64_e32 v[38:39], v[50:51], v[38:39]
	v_add_f64_e32 v[52:53], v[225:226], v[52:53]
	s_delay_alu instid0(VALU_DEP_2) | instskip(NEXT) | instid1(VALU_DEP_2)
	v_add_f64_e32 v[38:39], v[54:55], v[38:39]
	v_add_f64_e32 v[36:37], v[52:53], v[36:37]
	s_delay_alu instid0(VALU_DEP_2) | instskip(NEXT) | instid1(VALU_DEP_2)
	v_add_f64_e32 v[38:39], v[44:45], v[38:39]
	v_add_f64_e32 v[36:37], v[56:57], v[36:37]
	v_mul_f64_e32 v[44:45], s[22:23], v[150:151]
	s_delay_alu instid0(VALU_DEP_3) | instskip(NEXT) | instid1(VALU_DEP_3)
	v_add_f64_e32 v[40:41], v[40:41], v[38:39]
	v_add_f64_e32 v[36:37], v[42:43], v[36:37]
	s_delay_alu instid0(VALU_DEP_3) | instskip(NEXT) | instid1(VALU_DEP_2)
	v_add_f64_e64 v[44:45], v[44:45], -v[179:180]
	v_add_f64_e32 v[38:39], v[46:47], v[36:37]
	s_delay_alu instid0(VALU_DEP_2) | instskip(SKIP_3) | instid1(VALU_DEP_1)
	v_add_f64_e32 v[36:37], v[44:45], v[40:41]
	scratch_load_b32 v40, off, off offset:12 ; 4-byte Folded Reload
	s_wait_loadcnt 0x0
	v_and_b32_e32 v40, 0xffff, v40
	v_lshlrev_b32_e32 v40, 4, v40
	ds_store_b128 v40, v[20:23] offset:32
	ds_store_b128 v40, v[24:27] offset:48
	;; [unrolled: 1-line block ×6, first 2 shown]
	ds_store_b128 v40, v[16:19]
	ds_store_b128 v40, v[100:103] offset:128
	ds_store_b128 v40, v[104:107] offset:144
	;; [unrolled: 1-line block ×10, first 2 shown]
.LBB0_7:
	s_wait_alu 0xfffe
	s_or_b32 exec_lo, exec_lo, s24
	global_wb scope:SCOPE_SE
	s_wait_storecnt_dscnt 0x0
	s_barrier_signal -1
	s_barrier_wait -1
	global_inv scope:SCOPE_SE
	ds_load_b128 v[60:63], v255
	ds_load_b128 v[108:111], v255 offset:2448
	ds_load_b128 v[76:79], v255 offset:4896
	;; [unrolled: 1-line block ×6, first 2 shown]
	scratch_load_b32 v12, off, off          ; 4-byte Folded Reload
	s_wait_loadcnt 0x0
	v_cmp_gt_u16_e64 s0, 34, v12
	s_delay_alu instid0(VALU_DEP_1)
	s_and_saveexec_b32 s1, s0
	s_cbranch_execz .LBB0_9
; %bb.8:
	ds_load_b128 v[84:87], v255 offset:1904
	ds_load_b128 v[100:103], v255 offset:4352
	;; [unrolled: 1-line block ×7, first 2 shown]
.LBB0_9:
	s_wait_alu 0xfffe
	s_or_b32 exec_lo, exec_lo, s1
	scratch_load_b32 v16, off, off          ; 4-byte Folded Reload
	s_mov_b32 s6, 0x37e14327
	s_mov_b32 s10, 0x36b3c0b5
	s_mov_b32 s14, 0xe976ee23
	s_mov_b32 s16, 0x429ad128
	s_mov_b32 s7, 0x3fe948f6
	s_mov_b32 s11, 0x3fac98ee
	s_mov_b32 s15, 0xbfe11646
	s_mov_b32 s17, 0x3febfeb5
	s_mov_b32 s20, 0xb247c609
	s_mov_b32 s19, 0xbfe77f67
	s_mov_b32 s21, 0x3fd5d0dc
	s_mov_b32 s23, 0xbfd5d0dc
	s_wait_alu 0xfffe
	s_mov_b32 s22, s20
	s_wait_loadcnt 0x0
	v_and_b32_e32 v12, 0xff, v16
	v_add_nc_u16 v13, v16, 0x77
	s_delay_alu instid0(VALU_DEP_2) | instskip(NEXT) | instid1(VALU_DEP_2)
	v_mul_lo_u16 v12, 0xf1, v12
	v_and_b32_e32 v14, 0xff, v13
	s_delay_alu instid0(VALU_DEP_2) | instskip(NEXT) | instid1(VALU_DEP_2)
	v_lshrrev_b16 v12, 12, v12
	v_mul_lo_u16 v14, 0xf1, v14
	s_delay_alu instid0(VALU_DEP_2) | instskip(NEXT) | instid1(VALU_DEP_2)
	v_mul_lo_u16 v15, v12, 17
	v_lshrrev_b16 v116, 12, v14
	v_and_b32_e32 v12, 0xffff, v12
	s_delay_alu instid0(VALU_DEP_3) | instskip(NEXT) | instid1(VALU_DEP_3)
	v_sub_nc_u16 v15, v16, v15
	v_mul_lo_u16 v14, v116, 17
	s_delay_alu instid0(VALU_DEP_3) | instskip(NEXT) | instid1(VALU_DEP_3)
	v_mul_u32_u24_e32 v12, 0x77, v12
	v_and_b32_e32 v117, 0xff, v15
	s_delay_alu instid0(VALU_DEP_3) | instskip(NEXT) | instid1(VALU_DEP_2)
	v_sub_nc_u16 v13, v13, v14
	v_mul_u32_u24_e32 v15, 6, v117
	s_delay_alu instid0(VALU_DEP_2) | instskip(SKIP_1) | instid1(VALU_DEP_3)
	v_and_b32_e32 v13, 0xff, v13
	v_add_lshl_u32 v176, v12, v117, 4
	v_lshlrev_b32_e32 v14, 4, v15
	s_clause 0x1
	global_load_b128 v[48:51], v14, s[2:3]
	global_load_b128 v[40:43], v14, s[2:3] offset:16
	scratch_store_b32 off, v13, off offset:16 ; 4-byte Folded Spill
	v_mul_u32_u24_e32 v13, 6, v13
	s_clause 0x1
	global_load_b128 v[44:47], v14, s[2:3] offset:80
	global_load_b128 v[36:39], v14, s[2:3] offset:64
	v_lshlrev_b32_e32 v13, 4, v13
	s_clause 0x7
	global_load_b128 v[19:22], v13, s[2:3]
	global_load_b128 v[15:18], v13, s[2:3] offset:16
	global_load_b128 v[23:26], v13, s[2:3] offset:80
	;; [unrolled: 1-line block ×7, first 2 shown]
	v_and_b32_e32 v13, 0xffff, v116
	scratch_store_b32 off, v13, off offset:24 ; 4-byte Folded Spill
	s_wait_loadcnt_dscnt 0xb05
	v_mul_f64_e32 v[118:119], v[110:111], v[50:51]
	v_mul_f64_e32 v[120:121], v[108:109], v[50:51]
	s_wait_loadcnt_dscnt 0xa04
	v_mul_f64_e32 v[122:123], v[78:79], v[42:43]
	v_mul_f64_e32 v[124:125], v[76:77], v[42:43]
	;; [unrolled: 3-line block ×3, first 2 shown]
	s_wait_loadcnt 0x8
	v_mul_f64_e32 v[130:131], v[74:75], v[38:39]
	v_mul_f64_e32 v[132:133], v[72:73], v[38:39]
	s_wait_loadcnt 0x7
	v_mul_f64_e32 v[134:135], v[102:103], v[21:22]
	v_mul_f64_e32 v[136:137], v[100:101], v[21:22]
	;; [unrolled: 3-line block ×7, first 2 shown]
	s_clause 0x2
	scratch_store_b128 off, v[19:22], off offset:48
	scratch_store_b128 off, v[23:26], off offset:64
	;; [unrolled: 1-line block ×3, first 2 shown]
	s_wait_loadcnt 0x0
	scratch_store_b128 off, v[158:161], off offset:80 ; 16-byte Folded Spill
	v_fma_f64 v[108:109], v[108:109], v[48:49], -v[118:119]
	v_fma_f64 v[110:111], v[110:111], v[48:49], v[120:121]
	v_fma_f64 v[76:77], v[76:77], v[40:41], -v[122:123]
	v_fma_f64 v[78:79], v[78:79], v[40:41], v[124:125]
	;; [unrolled: 2-line block ×4, first 2 shown]
	v_mul_f64_e32 v[118:119], v[98:99], v[30:31]
	v_mul_f64_e32 v[120:121], v[96:97], v[30:31]
	;; [unrolled: 1-line block ×4, first 2 shown]
	v_fma_f64 v[100:101], v[100:101], v[19:20], -v[134:135]
	v_fma_f64 v[102:103], v[102:103], v[19:20], v[136:137]
	v_fma_f64 v[104:105], v[104:105], v[15:16], -v[138:139]
	v_fma_f64 v[106:107], v[106:107], v[15:16], v[140:141]
	;; [unrolled: 2-line block ×6, first 2 shown]
	v_add_f64_e32 v[126:127], v[108:109], v[112:113]
	v_add_f64_e32 v[128:129], v[110:111], v[114:115]
	;; [unrolled: 1-line block ×4, first 2 shown]
	v_fma_f64 v[96:97], v[96:97], v[28:29], -v[118:119]
	v_fma_f64 v[98:99], v[98:99], v[28:29], v[120:121]
	v_fma_f64 v[92:93], v[92:93], v[158:159], -v[122:123]
	v_fma_f64 v[94:95], v[94:95], v[158:159], v[124:125]
	v_add_f64_e64 v[72:73], v[76:77], -v[72:73]
	v_add_f64_e64 v[74:75], v[78:79], -v[74:75]
	v_add_f64_e32 v[118:119], v[100:101], v[80:81]
	v_add_f64_e32 v[120:121], v[102:103], v[82:83]
	;; [unrolled: 1-line block ×4, first 2 shown]
	v_add_f64_e64 v[88:89], v[104:105], -v[88:89]
	v_add_f64_e64 v[90:91], v[106:107], -v[90:91]
	v_add_f64_e32 v[76:77], v[68:69], v[64:65]
	v_add_f64_e32 v[78:79], v[70:71], v[66:67]
	v_add_f64_e64 v[64:65], v[64:65], -v[68:69]
	v_add_f64_e64 v[66:67], v[66:67], -v[70:71]
	;; [unrolled: 1-line block ×6, first 2 shown]
	v_add_f64_e32 v[108:109], v[130:131], v[126:127]
	v_add_f64_e32 v[110:111], v[132:133], v[128:129]
	;; [unrolled: 1-line block ×4, first 2 shown]
	v_add_f64_e64 v[92:93], v[92:93], -v[96:97]
	v_add_f64_e64 v[94:95], v[94:95], -v[98:99]
	v_add_f64_e32 v[96:97], v[122:123], v[118:119]
	v_add_f64_e32 v[98:99], v[124:125], v[120:121]
	v_add_f64_e64 v[100:101], v[126:127], -v[76:77]
	v_add_f64_e64 v[102:103], v[128:129], -v[78:79]
	;; [unrolled: 1-line block ×10, first 2 shown]
	v_add_f64_e32 v[108:109], v[76:77], v[108:109]
	v_add_f64_e32 v[110:111], v[78:79], v[110:111]
	v_add_f64_e64 v[76:77], v[76:77], -v[130:131]
	v_add_f64_e64 v[78:79], v[78:79], -v[132:133]
	;; [unrolled: 1-line block ×6, first 2 shown]
	v_add_f64_e32 v[130:131], v[64:65], v[72:73]
	v_add_f64_e32 v[132:133], v[66:67], v[74:75]
	v_add_f64_e64 v[64:65], v[68:69], -v[64:65]
	v_add_f64_e64 v[66:67], v[70:71], -v[66:67]
	v_add_f64_e32 v[96:97], v[104:105], v[96:97]
	v_add_f64_e32 v[98:99], v[106:107], v[98:99]
	v_add_f64_e64 v[104:105], v[104:105], -v[122:123]
	v_add_f64_e64 v[106:107], v[106:107], -v[124:125]
	v_add_f64_e32 v[88:89], v[92:93], v[88:89]
	v_add_f64_e32 v[90:91], v[94:95], v[90:91]
	v_mul_f64_e32 v[100:101], s[6:7], v[100:101]
	v_mul_f64_e32 v[102:103], s[6:7], v[102:103]
	;; [unrolled: 1-line block ×4, first 2 shown]
	v_add_f64_e64 v[118:119], v[122:123], -v[118:119]
	v_add_f64_e64 v[120:121], v[124:125], -v[120:121]
	v_mul_f64_e32 v[122:123], s[16:17], v[134:135]
	v_mul_f64_e32 v[124:125], s[16:17], v[136:137]
	v_add_f64_e64 v[92:93], v[80:81], -v[92:93]
	v_add_f64_e64 v[94:95], v[82:83], -v[94:95]
	v_mul_f64_e32 v[154:155], s[16:17], v[146:147]
	v_mul_f64_e32 v[156:157], s[16:17], v[148:149]
	v_add_f64_e32 v[72:73], v[60:61], v[108:109]
	v_add_f64_e32 v[74:75], v[62:63], v[110:111]
	v_mul_f64_e32 v[150:151], s[10:11], v[76:77]
	v_mul_f64_e32 v[152:153], s[10:11], v[78:79]
	;; [unrolled: 1-line block ×6, first 2 shown]
	s_mov_b32 s6, 0xaaaaaaaa
	s_mov_b32 s14, 0x5476071b
	;; [unrolled: 1-line block ×4, first 2 shown]
	v_add_f64_e32 v[60:61], v[84:85], v[96:97]
	v_add_f64_e32 v[62:63], v[86:87], v[98:99]
	v_mul_f64_e32 v[84:85], s[10:11], v[104:105]
	v_mul_f64_e32 v[86:87], s[10:11], v[106:107]
	s_wait_alu 0xfffe
	s_mov_b32 s18, s14
	v_add_f64_e32 v[68:69], v[130:131], v[68:69]
	v_add_f64_e32 v[70:71], v[132:133], v[70:71]
	;; [unrolled: 1-line block ×4, first 2 shown]
	v_fma_f64 v[76:77], v[76:77], s[10:11], v[100:101]
	v_fma_f64 v[78:79], v[78:79], s[10:11], v[102:103]
	;; [unrolled: 1-line block ×4, first 2 shown]
	v_fma_f64 v[112:113], v[134:135], s[16:17], -v[112:113]
	v_fma_f64 v[114:115], v[136:137], s[16:17], -v[114:115]
	v_fma_f64 v[64:65], v[64:65], s[22:23], -v[122:123]
	v_fma_f64 v[66:67], v[66:67], s[22:23], -v[124:125]
	s_wait_alu 0xfffe
	v_fma_f64 v[100:101], v[126:127], s[18:19], -v[100:101]
	v_fma_f64 v[102:103], v[128:129], s[18:19], -v[102:103]
	;; [unrolled: 1-line block ×4, first 2 shown]
	v_fma_f64 v[108:109], v[108:109], s[6:7], v[72:73]
	v_fma_f64 v[110:111], v[110:111], s[6:7], v[74:75]
	v_fma_f64 v[122:123], v[126:127], s[14:15], -v[150:151]
	v_fma_f64 v[124:125], v[128:129], s[14:15], -v[152:153]
	;; [unrolled: 1-line block ×6, first 2 shown]
	v_fma_f64 v[92:93], v[92:93], s[20:21], v[142:143]
	v_fma_f64 v[94:95], v[94:95], s[20:21], v[144:145]
	;; [unrolled: 1-line block ×6, first 2 shown]
	v_fma_f64 v[84:85], v[118:119], s[14:15], -v[84:85]
	v_fma_f64 v[86:87], v[120:121], s[14:15], -v[86:87]
	s_mov_b32 s6, 0x37c3f68c
	s_mov_b32 s7, 0x3fdc38aa
	s_wait_alu 0xfffe
	v_fma_f64 v[120:121], v[68:69], s[6:7], v[88:89]
	v_fma_f64 v[118:119], v[70:71], s[6:7], v[90:91]
	;; [unrolled: 1-line block ×6, first 2 shown]
	v_add_f64_e32 v[138:139], v[76:77], v[108:109]
	v_add_f64_e32 v[140:141], v[78:79], v[110:111]
	;; [unrolled: 1-line block ×6, first 2 shown]
	v_fma_f64 v[122:123], v[80:81], s[6:7], v[130:131]
	v_fma_f64 v[124:125], v[82:83], s[6:7], v[132:133]
	;; [unrolled: 1-line block ×6, first 2 shown]
	v_add_f64_e32 v[126:127], v[126:127], v[96:97]
	v_add_f64_e32 v[128:129], v[128:129], v[98:99]
	;; [unrolled: 1-line block ×6, first 2 shown]
	s_load_b128 s[4:7], s[4:5], 0x0
	global_wb scope:SCOPE_SE
	s_wait_storecnt 0x0
	s_wait_kmcnt 0x0
	s_barrier_signal -1
	s_barrier_wait -1
	global_inv scope:SCOPE_SE
	v_add_f64_e32 v[76:77], v[118:119], v[138:139]
	v_add_f64_e64 v[78:79], v[140:141], -v[120:121]
	v_add_f64_e32 v[80:81], v[112:113], v[100:101]
	v_add_f64_e64 v[82:83], v[102:103], -v[114:115]
	v_add_f64_e64 v[84:85], v[108:109], -v[88:89]
	v_add_f64_e32 v[86:87], v[90:91], v[110:111]
	v_add_f64_e32 v[88:89], v[88:89], v[108:109]
	v_add_f64_e64 v[90:91], v[110:111], -v[90:91]
	v_add_f64_e64 v[112:113], v[100:101], -v[112:113]
	v_add_f64_e32 v[114:115], v[114:115], v[102:103]
	v_add_f64_e64 v[118:119], v[138:139], -v[118:119]
	v_add_f64_e32 v[120:121], v[120:121], v[140:141]
	v_add_f64_e32 v[108:109], v[132:133], v[126:127]
	v_add_f64_e64 v[110:111], v[128:129], -v[130:131]
	v_add_f64_e64 v[104:105], v[134:135], -v[124:125]
	v_add_f64_e32 v[106:107], v[122:123], v[136:137]
	v_add_f64_e32 v[100:101], v[124:125], v[134:135]
	v_add_f64_e64 v[102:103], v[136:137], -v[122:123]
	v_add_f64_e64 v[96:97], v[126:127], -v[132:133]
	v_add_f64_e32 v[98:99], v[130:131], v[128:129]
	v_add_f64_e64 v[92:93], v[66:67], -v[64:65]
	v_add_f64_e32 v[94:95], v[68:69], v[70:71]
	ds_store_b128 v176, v[72:75]
	ds_store_b128 v176, v[76:79] offset:272
	ds_store_b128 v176, v[80:83] offset:544
	;; [unrolled: 1-line block ×6, first 2 shown]
	s_and_saveexec_b32 s1, s0
	s_cbranch_execz .LBB0_11
; %bb.10:
	s_clause 0x1
	scratch_load_b32 v12, off, off offset:24
	scratch_load_b32 v13, off, off offset:16
	v_add_f64_e64 v[68:69], v[70:71], -v[68:69]
	v_add_f64_e32 v[66:67], v[64:65], v[66:67]
	s_wait_loadcnt 0x1
	v_mul_u32_u24_e32 v12, 0x77, v12
	s_wait_loadcnt 0x0
	s_delay_alu instid0(VALU_DEP_1)
	v_add_lshl_u32 v12, v12, v13, 4
	ds_store_b128 v12, v[108:111] offset:544
	ds_store_b128 v12, v[104:107] offset:816
	;; [unrolled: 1-line block ×4, first 2 shown]
	ds_store_b128 v12, v[60:63]
	ds_store_b128 v12, v[66:69] offset:272
	ds_store_b128 v12, v[92:95] offset:1632
.LBB0_11:
	s_wait_alu 0xfffe
	s_or_b32 exec_lo, exec_lo, s1
	scratch_load_b32 v12, off, off          ; 4-byte Folded Reload
	global_wb scope:SCOPE_SE
	s_wait_loadcnt_dscnt 0x0
	s_barrier_signal -1
	s_barrier_wait -1
	global_inv scope:SCOPE_SE
	s_mov_b32 s11, 0x3fe491b7
	s_mov_b32 s10, 0x523c161c
	;; [unrolled: 1-line block ×6, first 2 shown]
	v_lshlrev_b32_e32 v12, 7, v12
	s_clause 0x7
	global_load_b128 v[68:71], v12, s[2:3] offset:1632
	global_load_b128 v[80:83], v12, s[2:3] offset:1744
	;; [unrolled: 1-line block ×8, first 2 shown]
	ds_load_b128 v[112:115], v255 offset:1904
	ds_load_b128 v[116:119], v255 offset:15232
	;; [unrolled: 1-line block ×7, first 2 shown]
	s_mov_b32 s2, 0x8c811c17
	s_mov_b32 s3, 0x3fef838b
	s_wait_loadcnt_dscnt 0x706
	v_mul_f64_e32 v[140:141], v[114:115], v[70:71]
	v_mul_f64_e32 v[142:143], v[112:113], v[70:71]
	s_wait_loadcnt_dscnt 0x605
	v_mul_f64_e32 v[144:145], v[118:119], v[82:83]
	v_mul_f64_e32 v[146:147], v[116:117], v[82:83]
	;; [unrolled: 3-line block ×3, first 2 shown]
	s_wait_loadcnt_dscnt 0x403
	v_mul_f64_e32 v[152:153], v[126:127], v[74:75]
	s_wait_loadcnt_dscnt 0x302
	v_mul_f64_e32 v[154:155], v[130:131], v[90:91]
	v_mul_f64_e32 v[156:157], v[124:125], v[74:75]
	;; [unrolled: 1-line block ×3, first 2 shown]
	s_wait_loadcnt_dscnt 0x201
	v_mul_f64_e32 v[160:161], v[134:135], v[86:87]
	v_mul_f64_e32 v[162:163], v[132:133], v[86:87]
	v_fma_f64 v[140:141], v[112:113], v[68:69], -v[140:141]
	v_fma_f64 v[142:143], v[114:115], v[68:69], v[142:143]
	v_fma_f64 v[116:117], v[116:117], v[80:81], -v[144:145]
	v_fma_f64 v[118:119], v[118:119], v[80:81], v[146:147]
	;; [unrolled: 2-line block ×3, first 2 shown]
	v_fma_f64 v[124:125], v[124:125], v[72:73], -v[152:153]
	v_fma_f64 v[128:129], v[128:129], v[88:89], -v[154:155]
	v_fma_f64 v[126:127], v[126:127], v[72:73], v[156:157]
	v_fma_f64 v[130:131], v[130:131], v[88:89], v[158:159]
	v_fma_f64 v[144:145], v[132:133], v[84:85], -v[160:161]
	v_fma_f64 v[146:147], v[134:135], v[84:85], v[162:163]
	ds_load_b128 v[112:115], v255 offset:11424
	ds_load_b128 v[132:135], v255
	s_wait_loadcnt_dscnt 0x102
	v_mul_f64_e32 v[148:149], v[138:139], v[66:67]
	v_mul_f64_e32 v[150:151], v[136:137], v[66:67]
	s_wait_loadcnt_dscnt 0x1
	v_mul_f64_e32 v[152:153], v[114:115], v[62:63]
	v_mul_f64_e32 v[154:155], v[112:113], v[62:63]
	v_add_f64_e64 v[156:157], v[140:141], -v[116:117]
	v_add_f64_e64 v[158:159], v[142:143], -v[118:119]
	v_add_f64_e32 v[116:117], v[140:141], v[116:117]
	v_add_f64_e32 v[118:119], v[142:143], v[118:119]
	;; [unrolled: 1-line block ×3, first 2 shown]
	v_add_f64_e64 v[142:143], v[124:125], -v[128:129]
	v_add_f64_e64 v[160:161], v[126:127], -v[130:131]
	v_add_f64_e32 v[162:163], v[120:121], v[144:145]
	v_add_f64_e32 v[164:165], v[122:123], v[146:147]
	v_add_f64_e32 v[166:167], v[126:127], v[130:131]
	v_add_f64_e64 v[120:121], v[120:121], -v[144:145]
	v_add_f64_e64 v[122:123], v[122:123], -v[146:147]
	v_fma_f64 v[136:137], v[136:137], v[64:65], -v[148:149]
	v_fma_f64 v[138:139], v[138:139], v[64:65], v[150:151]
	v_fma_f64 v[112:113], v[112:113], v[60:61], -v[152:153]
	v_fma_f64 v[114:115], v[114:115], v[60:61], v[154:155]
	s_wait_alu 0xfffe
	v_mul_f64_e32 v[144:145], s[10:11], v[156:157]
	v_mul_f64_e32 v[146:147], s[10:11], v[158:159]
	s_mov_b32 s11, 0xbfe491b7
	s_wait_dscnt 0x0
	v_fma_f64 v[148:149], v[116:117], s[14:15], v[132:133]
	v_fma_f64 v[150:151], v[118:119], s[14:15], v[134:135]
	v_fma_f64 v[152:153], v[140:141], s[14:15], v[132:133]
	v_mul_f64_e32 v[154:155], s[2:3], v[142:143]
	v_mul_f64_e32 v[168:169], s[2:3], v[160:161]
	v_fma_f64 v[170:171], v[162:163], s[14:15], v[132:133]
	v_fma_f64 v[172:173], v[164:165], s[14:15], v[134:135]
	;; [unrolled: 1-line block ×3, first 2 shown]
	s_wait_alu 0xfffe
	v_mul_f64_e32 v[177:178], s[10:11], v[160:161]
	v_mul_f64_e32 v[179:180], s[10:11], v[142:143]
	s_mov_b32 s14, 0x7e0b738b
	s_mov_b32 s15, 0x3fc63a1a
	v_add_f64_e32 v[185:186], v[162:163], v[116:117]
	v_add_f64_e32 v[187:188], v[164:165], v[118:119]
	;; [unrolled: 1-line block ×4, first 2 shown]
	v_add_f64_e64 v[112:113], v[136:137], -v[112:113]
	v_add_f64_e64 v[114:115], v[138:139], -v[114:115]
	v_fma_f64 v[136:137], v[120:121], s[2:3], v[144:145]
	v_fma_f64 v[138:139], v[122:123], s[2:3], v[146:147]
	s_wait_alu 0xfffe
	v_fma_f64 v[144:145], v[162:163], s[14:15], v[148:149]
	v_fma_f64 v[146:147], v[164:165], s[14:15], v[150:151]
	;; [unrolled: 1-line block ×3, first 2 shown]
	v_fma_f64 v[150:151], v[120:121], s[10:11], -v[154:155]
	v_fma_f64 v[152:153], v[122:123], s[10:11], -v[168:169]
	v_fma_f64 v[154:155], v[140:141], s[14:15], v[170:171]
	v_fma_f64 v[168:169], v[166:167], s[14:15], v[172:173]
	;; [unrolled: 1-line block ×5, first 2 shown]
	s_mov_b32 s2, 0xe8584cab
	s_mov_b32 s3, 0x3febb67a
	;; [unrolled: 1-line block ×3, first 2 shown]
	s_wait_alu 0xfffe
	s_mov_b32 s10, s2
	v_add_f64_e32 v[177:178], v[142:143], v[156:157]
	v_add_f64_e32 v[179:180], v[160:161], v[158:159]
	;; [unrolled: 1-line block ×4, first 2 shown]
	s_mov_b32 s14, 0x748a0bf8
	s_mov_b32 s15, 0x3fd5e3a8
	v_add_f64_e32 v[189:190], v[132:133], v[181:182]
	v_add_f64_e32 v[191:192], v[134:135], v[183:184]
	;; [unrolled: 1-line block ×4, first 2 shown]
	v_fma_f64 v[136:137], v[112:113], s[2:3], v[136:137]
	v_fma_f64 v[138:139], v[114:115], s[2:3], v[138:139]
	v_fma_f64 v[144:145], v[181:182], -0.5, v[144:145]
	v_fma_f64 v[146:147], v[183:184], -0.5, v[146:147]
	;; [unrolled: 1-line block ×3, first 2 shown]
	v_fma_f64 v[150:151], v[112:113], s[2:3], v[150:151]
	v_fma_f64 v[152:153], v[114:115], s[2:3], v[152:153]
	v_fma_f64 v[154:155], v[181:182], -0.5, v[154:155]
	v_fma_f64 v[168:169], v[183:184], -0.5, v[168:169]
	;; [unrolled: 1-line block ×3, first 2 shown]
	s_wait_alu 0xfffe
	v_fma_f64 v[114:115], v[114:115], s[10:11], v[172:173]
	v_fma_f64 v[112:113], v[112:113], s[10:11], v[174:175]
	v_add_f64_e64 v[172:173], v[177:178], -v[120:121]
	v_add_f64_e64 v[174:175], v[179:180], -v[122:123]
	v_fma_f64 v[177:178], v[193:194], -0.5, v[189:190]
	v_fma_f64 v[179:180], v[195:196], -0.5, v[191:192]
	v_add_f64_e32 v[124:125], v[124:125], v[185:186]
	v_add_f64_e32 v[126:127], v[126:127], v[187:188]
	v_fma_f64 v[142:143], v[142:143], s[14:15], v[136:137]
	v_fma_f64 v[160:161], v[160:161], s[14:15], v[138:139]
	;; [unrolled: 1-line block ×12, first 2 shown]
	v_mul_f64_e32 v[156:157], s[2:3], v[172:173]
	v_mul_f64_e32 v[158:159], s[2:3], v[174:175]
	v_add_f64_e32 v[112:113], v[128:129], v[124:125]
	v_add_f64_e32 v[114:115], v[130:131], v[126:127]
	v_fma_f64 v[124:125], v[174:175], s[2:3], v[177:178]
	v_fma_f64 v[126:127], v[172:173], s[10:11], v[179:180]
	v_add_f64_e32 v[116:117], v[160:161], v[136:137]
	v_add_f64_e32 v[128:129], v[148:149], v[144:145]
	v_add_f64_e64 v[130:131], v[118:119], -v[146:147]
	v_add_f64_e64 v[118:119], v[138:139], -v[142:143]
	v_add_f64_e32 v[120:121], v[152:153], v[140:141]
	v_add_f64_e64 v[122:123], v[150:151], -v[154:155]
	v_add_f64_e32 v[112:113], v[132:133], v[112:113]
	v_add_f64_e32 v[114:115], v[134:135], v[114:115]
	v_fma_f64 v[136:137], v[158:159], -2.0, v[124:125]
	v_fma_f64 v[138:139], v[156:157], 2.0, v[126:127]
	v_fma_f64 v[144:145], v[160:161], -2.0, v[116:117]
	v_fma_f64 v[132:133], v[148:149], -2.0, v[128:129]
	v_fma_f64 v[134:135], v[146:147], 2.0, v[130:131]
	v_fma_f64 v[146:147], v[142:143], 2.0, v[118:119]
	v_fma_f64 v[140:141], v[152:153], -2.0, v[120:121]
	v_fma_f64 v[142:143], v[154:155], 2.0, v[122:123]
	ds_store_b128 v255, v[112:115]
	ds_store_b128 v255, v[116:119] offset:1904
	ds_store_b128 v255, v[120:123] offset:3808
	;; [unrolled: 1-line block ×8, first 2 shown]
	global_wb scope:SCOPE_SE
	s_wait_dscnt 0x0
	s_barrier_signal -1
	s_barrier_wait -1
	global_inv scope:SCOPE_SE
	s_and_saveexec_b32 s1, vcc_lo
	s_cbranch_execz .LBB0_13
; %bb.12:
	global_load_b128 v[148:151], v255, s[8:9] offset:17136
	s_add_nc_u64 s[2:3], s[8:9], 0x42f0
	s_clause 0x3
	global_load_b128 v[152:155], v255, s[2:3] offset:1008
	global_load_b128 v[156:159], v255, s[2:3] offset:2016
	;; [unrolled: 1-line block ×4, first 2 shown]
	ds_load_b128 v[168:171], v255
	ds_load_b128 v[172:175], v255 offset:1008
	ds_load_b128 v[177:180], v255 offset:16128
	s_wait_loadcnt_dscnt 0x301
	v_mul_f64_e32 v[185:186], v[174:175], v[154:155]
	v_mul_f64_e32 v[181:182], v[170:171], v[150:151]
	;; [unrolled: 1-line block ×4, first 2 shown]
	s_delay_alu instid0(VALU_DEP_4) | instskip(NEXT) | instid1(VALU_DEP_4)
	v_fma_f64 v[172:173], v[172:173], v[152:153], -v[185:186]
	v_fma_f64 v[168:169], v[168:169], v[148:149], -v[181:182]
	s_delay_alu instid0(VALU_DEP_4)
	v_fma_f64 v[170:171], v[170:171], v[148:149], v[150:151]
	ds_load_b128 v[148:151], v255 offset:2016
	ds_load_b128 v[181:184], v255 offset:3024
	v_fma_f64 v[174:175], v[174:175], v[152:153], v[154:155]
	s_wait_loadcnt_dscnt 0x201
	v_mul_f64_e32 v[152:153], v[150:151], v[158:159]
	v_mul_f64_e32 v[154:155], v[148:149], v[158:159]
	s_wait_loadcnt_dscnt 0x100
	v_mul_f64_e32 v[185:186], v[183:184], v[162:163]
	v_mul_f64_e32 v[162:163], v[181:182], v[162:163]
	s_delay_alu instid0(VALU_DEP_4) | instskip(NEXT) | instid1(VALU_DEP_4)
	v_fma_f64 v[148:149], v[148:149], v[156:157], -v[152:153]
	v_fma_f64 v[150:151], v[150:151], v[156:157], v[154:155]
	ds_load_b128 v[156:159], v255 offset:4032
	global_load_b128 v[152:155], v255, s[2:3] offset:5040
	v_fma_f64 v[181:182], v[181:182], v[160:161], -v[185:186]
	v_fma_f64 v[183:184], v[183:184], v[160:161], v[162:163]
	ds_load_b128 v[160:163], v255 offset:5040
	s_wait_loadcnt_dscnt 0x101
	v_mul_f64_e32 v[185:186], v[158:159], v[166:167]
	v_mul_f64_e32 v[166:167], v[156:157], v[166:167]
	s_delay_alu instid0(VALU_DEP_2) | instskip(NEXT) | instid1(VALU_DEP_2)
	v_fma_f64 v[156:157], v[156:157], v[164:165], -v[185:186]
	v_fma_f64 v[158:159], v[158:159], v[164:165], v[166:167]
	global_load_b128 v[164:167], v255, s[2:3] offset:6048
	s_wait_loadcnt_dscnt 0x100
	v_mul_f64_e32 v[185:186], v[162:163], v[154:155]
	v_mul_f64_e32 v[154:155], v[160:161], v[154:155]
	s_delay_alu instid0(VALU_DEP_2) | instskip(NEXT) | instid1(VALU_DEP_2)
	v_fma_f64 v[160:161], v[160:161], v[152:153], -v[185:186]
	v_fma_f64 v[162:163], v[162:163], v[152:153], v[154:155]
	ds_load_b128 v[152:155], v255 offset:6048
	ds_load_b128 v[185:188], v255 offset:7056
	s_wait_loadcnt_dscnt 0x1
	v_mul_f64_e32 v[189:190], v[154:155], v[166:167]
	v_mul_f64_e32 v[166:167], v[152:153], v[166:167]
	s_delay_alu instid0(VALU_DEP_2) | instskip(NEXT) | instid1(VALU_DEP_2)
	v_fma_f64 v[152:153], v[152:153], v[164:165], -v[189:190]
	v_fma_f64 v[154:155], v[154:155], v[164:165], v[166:167]
	s_clause 0x1
	global_load_b128 v[164:167], v255, s[2:3] offset:7056
	global_load_b128 v[189:192], v255, s[2:3] offset:8064
	s_wait_loadcnt_dscnt 0x100
	v_mul_f64_e32 v[193:194], v[187:188], v[166:167]
	v_mul_f64_e32 v[166:167], v[185:186], v[166:167]
	s_delay_alu instid0(VALU_DEP_2) | instskip(NEXT) | instid1(VALU_DEP_2)
	v_fma_f64 v[185:186], v[185:186], v[164:165], -v[193:194]
	v_fma_f64 v[187:188], v[187:188], v[164:165], v[166:167]
	ds_load_b128 v[164:167], v255 offset:8064
	ds_load_b128 v[193:196], v255 offset:9072
	s_wait_loadcnt_dscnt 0x1
	v_mul_f64_e32 v[197:198], v[166:167], v[191:192]
	v_mul_f64_e32 v[191:192], v[164:165], v[191:192]
	s_delay_alu instid0(VALU_DEP_2) | instskip(NEXT) | instid1(VALU_DEP_2)
	v_fma_f64 v[164:165], v[164:165], v[189:190], -v[197:198]
	v_fma_f64 v[166:167], v[166:167], v[189:190], v[191:192]
	s_clause 0x1
	global_load_b128 v[189:192], v255, s[2:3] offset:9072
	;; [unrolled: 17-line block ×4, first 2 shown]
	global_load_b128 v[217:220], v255, s[2:3] offset:14112
	ds_load_b128 v[221:224], v255 offset:14112
	ds_load_b128 v[225:228], v255 offset:15120
	s_wait_loadcnt_dscnt 0x102
	v_mul_f64_e32 v[189:190], v[215:216], v[211:212]
	v_mul_f64_e32 v[199:200], v[213:214], v[211:212]
	s_delay_alu instid0(VALU_DEP_2) | instskip(SKIP_2) | instid1(VALU_DEP_3)
	v_fma_f64 v[211:212], v[213:214], v[209:210], -v[189:190]
	s_wait_loadcnt_dscnt 0x1
	v_mul_f64_e32 v[189:190], v[223:224], v[219:220]
	v_fma_f64 v[213:214], v[215:216], v[209:210], v[199:200]
	v_mul_f64_e32 v[199:200], v[221:222], v[219:220]
	s_delay_alu instid0(VALU_DEP_3)
	v_fma_f64 v[215:216], v[221:222], v[217:218], -v[189:190]
	s_clause 0x1
	global_load_b128 v[219:222], v255, s[2:3] offset:15120
	global_load_b128 v[229:232], v255, s[2:3] offset:16128
	v_fma_f64 v[217:218], v[223:224], v[217:218], v[199:200]
	s_wait_loadcnt_dscnt 0x100
	v_mul_f64_e32 v[189:190], v[227:228], v[221:222]
	v_mul_f64_e32 v[199:200], v[225:226], v[221:222]
	s_delay_alu instid0(VALU_DEP_2) | instskip(NEXT) | instid1(VALU_DEP_2)
	v_fma_f64 v[221:222], v[225:226], v[219:220], -v[189:190]
	v_fma_f64 v[223:224], v[227:228], v[219:220], v[199:200]
	s_wait_loadcnt 0x0
	v_mul_f64_e32 v[189:190], v[179:180], v[231:232]
	v_mul_f64_e32 v[199:200], v[177:178], v[231:232]
	s_delay_alu instid0(VALU_DEP_2) | instskip(NEXT) | instid1(VALU_DEP_2)
	v_fma_f64 v[177:178], v[177:178], v[229:230], -v[189:190]
	v_fma_f64 v[179:180], v[179:180], v[229:230], v[199:200]
	ds_store_b128 v255, v[168:171]
	ds_store_b128 v255, v[172:175] offset:1008
	ds_store_b128 v255, v[148:151] offset:2016
	;; [unrolled: 1-line block ×16, first 2 shown]
.LBB0_13:
	s_wait_alu 0xfffe
	s_or_b32 exec_lo, exec_lo, s1
	global_wb scope:SCOPE_SE
	s_wait_dscnt 0x0
	s_barrier_signal -1
	s_barrier_wait -1
	global_inv scope:SCOPE_SE
	s_and_saveexec_b32 s1, vcc_lo
	s_cbranch_execz .LBB0_15
; %bb.14:
	ds_load_b128 v[112:115], v255
	ds_load_b128 v[116:119], v255 offset:1008
	ds_load_b128 v[120:123], v255 offset:2016
	;; [unrolled: 1-line block ×16, first 2 shown]
.LBB0_15:
	s_wait_alu 0xfffe
	s_or_b32 exec_lo, exec_lo, s1
	s_wait_dscnt 0x0
	v_add_f64_e64 v[195:196], v[118:119], -v[2:3]
	s_mov_b32 s10, 0xeb564b22
	s_mov_b32 s11, 0xbfefdd0d
	v_add_f64_e32 v[193:194], v[116:117], v[0:1]
	v_add_f64_e64 v[179:180], v[122:123], -v[6:7]
	s_mov_b32 s2, 0x3259b75e
	s_mov_b32 s16, 0xacd6c6b4
	;; [unrolled: 1-line block ×4, first 2 shown]
	v_add_f64_e32 v[177:178], v[120:121], v[4:5]
	v_add_f64_e32 v[249:250], v[118:119], v[2:3]
	s_mov_b32 s14, 0x7faef3
	s_mov_b32 s15, 0xbfef7484
	v_add_f64_e64 v[251:252], v[116:117], -v[0:1]
	v_add_f64_e32 v[181:182], v[122:123], v[6:7]
	v_add_f64_e64 v[187:188], v[120:121], -v[4:5]
	v_add_f64_e64 v[185:186], v[126:127], -v[10:11]
	s_mov_b32 s20, 0x923c349f
	s_mov_b32 s21, 0xbfeec746
	;; [unrolled: 1-line block ×3, first 2 shown]
	s_wait_alu 0xfffe
	s_mov_b32 s24, s20
	v_add_f64_e32 v[183:184], v[124:125], v[8:9]
	v_add_f64_e32 v[189:190], v[126:127], v[10:11]
	s_mov_b32 s18, 0xc61f0d01
	s_mov_b32 s19, 0xbfd183b1
	v_add_f64_e64 v[201:202], v[124:125], -v[8:9]
	v_add_f64_e64 v[199:200], v[130:131], -v[94:95]
	s_mov_b32 s34, 0x5d8e7cdc
	s_mov_b32 s35, 0x3fd71e95
	v_add_f64_e32 v[191:192], v[128:129], v[92:93]
	v_add_f64_e32 v[205:206], v[130:131], v[94:95]
	s_mov_b32 s22, 0x370991
	s_mov_b32 s23, 0x3fedd6d0
	v_add_f64_e64 v[211:212], v[128:129], -v[92:93]
	v_add_f64_e64 v[209:210], v[134:135], -v[98:99]
	s_mov_b32 s44, 0x7c9e640b
	s_mov_b32 s45, 0x3feca52d
	;; [unrolled: 1-line block ×3, first 2 shown]
	v_mul_f64_e32 v[12:13], s[10:11], v[195:196]
	s_wait_alu 0xfffe
	s_mov_b32 s28, s44
	v_add_f64_e32 v[207:208], v[132:133], v[96:97]
	v_add_f64_e32 v[215:216], v[134:135], v[98:99]
	s_mov_b32 s26, 0x2b2883cd
	s_mov_b32 s27, 0x3fdc86fa
	v_add_f64_e64 v[227:228], v[132:133], -v[96:97]
	v_add_f64_e64 v[223:224], v[138:139], -v[102:103]
	s_mov_b32 s36, 0x4363dd80
	s_mov_b32 s37, 0xbfe0d888
	v_add_f64_e32 v[219:220], v[136:137], v[100:101]
	v_add_f64_e32 v[221:222], v[138:139], v[102:103]
	s_mov_b32 s30, 0x910ea3b9
	s_mov_b32 s31, 0xbfeb34fa
	v_add_f64_e64 v[235:236], v[136:137], -v[100:101]
	v_add_f64_e64 v[233:234], v[142:143], -v[106:107]
	s_mov_b32 s40, 0x6c9a05f6
	s_mov_b32 s41, 0xbfe9895b
	;; [unrolled: 1-line block ×3, first 2 shown]
	s_wait_alu 0xfffe
	s_mov_b32 s50, s40
	v_add_f64_e32 v[225:226], v[140:141], v[104:105]
	v_add_f64_e32 v[229:230], v[142:143], v[106:107]
	s_mov_b32 s38, 0x6ed5f1bb
	s_mov_b32 s39, 0xbfe348c8
	v_add_f64_e64 v[245:246], v[140:141], -v[104:105]
	v_add_f64_e64 v[243:244], v[146:147], -v[110:111]
	s_mov_b32 s46, 0x2a9d6da3
	s_mov_b32 s47, 0x3fe58eea
	v_add_f64_e32 v[231:232], v[144:145], v[108:109]
	v_add_f64_e32 v[237:238], v[146:147], v[110:111]
	s_mov_b32 s42, 0x75d4884
	s_mov_b32 s43, 0x3fe7a5f6
	v_add_f64_e64 v[247:248], v[144:145], -v[108:109]
	s_mov_b32 s55, 0x3fe0d888
	s_mov_b32 s54, s36
	;; [unrolled: 1-line block ×5, first 2 shown]
	scratch_store_b64 off, v[12:13], off offset:96 ; 8-byte Folded Spill
	v_fma_f64 v[148:149], v[193:194], s[2:3], -v[12:13]
	v_mul_f64_e32 v[12:13], s[16:17], v[179:180]
	s_mov_b32 s52, s34
	s_mov_b32 s49, 0xbfe58eea
	s_wait_alu 0xfffe
	s_mov_b32 s48, s46
	v_mul_f64_e32 v[164:165], s[36:37], v[195:196]
	v_mul_f64_e32 v[166:167], s[44:45], v[179:180]
	;; [unrolled: 1-line block ×4, first 2 shown]
	s_mov_b32 s57, 0x3fc7851a
	s_mov_b32 s56, s16
	v_mul_f64_e32 v[20:21], s[20:21], v[233:234]
	v_mul_f64_e32 v[14:15], s[42:43], v[229:230]
	;; [unrolled: 1-line block ×4, first 2 shown]
	v_add_f64_e32 v[148:149], v[112:113], v[148:149]
	scratch_store_b64 off, v[12:13], off offset:104 ; 8-byte Folded Spill
	v_fma_f64 v[150:151], v[177:178], s[14:15], -v[12:13]
	v_mul_f64_e32 v[12:13], s[2:3], v[249:250]
	v_fma_f64 v[172:173], v[187:188], s[28:29], v[170:171]
	v_fma_f64 v[22:23], v[225:226], s[18:19], v[20:21]
	;; [unrolled: 1-line block ×3, first 2 shown]
	v_fma_f64 v[16:17], v[231:232], s[18:19], -v[16:17]
	v_fma_f64 v[26:27], v[231:232], s[2:3], v[24:25]
	v_add_f64_e32 v[148:149], v[150:151], v[148:149]
	scratch_store_b64 off, v[12:13], off offset:144 ; 8-byte Folded Spill
	v_fma_f64 v[150:151], v[251:252], s[10:11], v[12:13]
	v_mul_f64_e32 v[12:13], s[14:15], v[181:182]
	s_delay_alu instid0(VALU_DEP_2) | instskip(SKIP_3) | instid1(VALU_DEP_2)
	v_add_f64_e32 v[150:151], v[114:115], v[150:151]
	scratch_store_b64 off, v[12:13], off offset:112 ; 8-byte Folded Spill
	v_fma_f64 v[152:153], v[187:188], s[16:17], v[12:13]
	v_mul_f64_e32 v[12:13], s[24:25], v[185:186]
	v_add_f64_e32 v[150:151], v[152:153], v[150:151]
	scratch_store_b64 off, v[12:13], off offset:120 ; 8-byte Folded Spill
	v_fma_f64 v[152:153], v[183:184], s[18:19], -v[12:13]
	v_mul_f64_e32 v[12:13], s[18:19], v[189:190]
	s_delay_alu instid0(VALU_DEP_2) | instskip(SKIP_3) | instid1(VALU_DEP_2)
	v_add_f64_e32 v[148:149], v[152:153], v[148:149]
	scratch_store_b64 off, v[12:13], off offset:128 ; 8-byte Folded Spill
	v_fma_f64 v[152:153], v[201:202], s[24:25], v[12:13]
	v_mul_f64_e32 v[12:13], s[34:35], v[199:200]
	v_add_f64_e32 v[150:151], v[152:153], v[150:151]
	scratch_store_b64 off, v[12:13], off offset:136 ; 8-byte Folded Spill
	v_fma_f64 v[152:153], v[191:192], s[22:23], -v[12:13]
	;; [unrolled: 9-line block ×7, first 2 shown]
	v_mul_f64_e32 v[12:13], s[54:55], v[179:180]
	s_delay_alu instid0(VALU_DEP_2) | instskip(SKIP_3) | instid1(VALU_DEP_2)
	v_add_f64_e32 v[152:153], v[112:113], v[152:153]
	scratch_store_b64 off, v[12:13], off offset:224 ; 8-byte Folded Spill
	v_fma_f64 v[154:155], v[177:178], s[30:31], -v[12:13]
	v_mul_f64_e32 v[12:13], s[18:19], v[249:250]
	v_add_f64_e32 v[152:153], v[154:155], v[152:153]
	scratch_store_b64 off, v[12:13], off offset:352 ; 8-byte Folded Spill
	v_fma_f64 v[154:155], v[251:252], s[20:21], v[12:13]
	v_mul_f64_e32 v[12:13], s[30:31], v[181:182]
	s_delay_alu instid0(VALU_DEP_2) | instskip(SKIP_3) | instid1(VALU_DEP_2)
	v_add_f64_e32 v[154:155], v[114:115], v[154:155]
	scratch_store_b64 off, v[12:13], off offset:240 ; 8-byte Folded Spill
	v_fma_f64 v[156:157], v[187:188], s[54:55], v[12:13]
	v_mul_f64_e32 v[12:13], s[46:47], v[185:186]
	v_add_f64_e32 v[154:155], v[156:157], v[154:155]
	scratch_store_b64 off, v[12:13], off offset:232 ; 8-byte Folded Spill
	v_fma_f64 v[156:157], v[183:184], s[42:43], -v[12:13]
	v_mul_f64_e32 v[12:13], s[42:43], v[189:190]
	s_delay_alu instid0(VALU_DEP_2) | instskip(SKIP_3) | instid1(VALU_DEP_2)
	v_add_f64_e32 v[152:153], v[156:157], v[152:153]
	scratch_store_b64 off, v[12:13], off offset:264 ; 8-byte Folded Spill
	v_fma_f64 v[156:157], v[201:202], s[46:47], v[12:13]
	v_mul_f64_e32 v[12:13], s[28:29], v[199:200]
	v_add_f64_e32 v[154:155], v[156:157], v[154:155]
	scratch_store_b64 off, v[12:13], off offset:248 ; 8-byte Folded Spill
	v_fma_f64 v[156:157], v[191:192], s[26:27], -v[12:13]
	;; [unrolled: 9-line block ×7, first 2 shown]
	v_mul_f64_e32 v[12:13], s[24:25], v[179:180]
	s_delay_alu instid0(VALU_DEP_2) | instskip(SKIP_3) | instid1(VALU_DEP_2)
	v_add_f64_e32 v[152:153], v[112:113], v[152:153]
	scratch_store_b64 off, v[12:13], off offset:344 ; 8-byte Folded Spill
	v_fma_f64 v[154:155], v[177:178], s[18:19], -v[12:13]
	v_mul_f64_e32 v[12:13], s[38:39], v[249:250]
	v_add_f64_e32 v[152:153], v[154:155], v[152:153]
	scratch_store_b64 off, v[12:13], off offset:472 ; 8-byte Folded Spill
	v_fma_f64 v[154:155], v[251:252], s[40:41], v[12:13]
	v_mul_f64_e32 v[12:13], s[18:19], v[181:182]
	s_delay_alu instid0(VALU_DEP_2) | instskip(SKIP_3) | instid1(VALU_DEP_2)
	v_add_f64_e32 v[154:155], v[114:115], v[154:155]
	scratch_store_b64 off, v[12:13], off offset:368 ; 8-byte Folded Spill
	v_fma_f64 v[160:161], v[187:188], s[24:25], v[12:13]
	v_mul_f64_e32 v[12:13], s[52:53], v[185:186]
	v_add_f64_e32 v[154:155], v[160:161], v[154:155]
	scratch_store_b64 off, v[12:13], off offset:360 ; 8-byte Folded Spill
	v_fma_f64 v[160:161], v[183:184], s[22:23], -v[12:13]
	v_mul_f64_e32 v[12:13], s[22:23], v[189:190]
	s_delay_alu instid0(VALU_DEP_2) | instskip(SKIP_3) | instid1(VALU_DEP_2)
	v_add_f64_e32 v[152:153], v[160:161], v[152:153]
	scratch_store_b64 off, v[12:13], off offset:400 ; 8-byte Folded Spill
	v_fma_f64 v[160:161], v[201:202], s[52:53], v[12:13]
	v_mul_f64_e32 v[12:13], s[36:37], v[199:200]
	v_add_f64_e32 v[154:155], v[160:161], v[154:155]
	scratch_store_b64 off, v[12:13], off offset:376 ; 8-byte Folded Spill
	v_fma_f64 v[160:161], v[191:192], s[30:31], -v[12:13]
	;; [unrolled: 9-line block ×3, first 2 shown]
	v_mul_f64_e32 v[12:13], s[2:3], v[215:216]
	s_delay_alu instid0(VALU_DEP_2) | instskip(SKIP_4) | instid1(VALU_DEP_2)
	v_add_f64_e32 v[152:153], v[160:161], v[152:153]
	scratch_store_b64 off, v[12:13], off offset:456 ; 8-byte Folded Spill
	v_fma_f64 v[160:161], v[227:228], s[58:59], v[12:13]
	s_wait_alu 0xfffe
	v_mul_f64_e32 v[12:13], s[48:49], v[223:224]
	v_add_f64_e32 v[154:155], v[160:161], v[154:155]
	scratch_store_b64 off, v[12:13], off offset:408 ; 8-byte Folded Spill
	v_fma_f64 v[160:161], v[219:220], s[42:43], -v[12:13]
	v_mul_f64_e32 v[12:13], s[42:43], v[221:222]
	s_delay_alu instid0(VALU_DEP_2) | instskip(SKIP_3) | instid1(VALU_DEP_2)
	v_add_f64_e32 v[152:153], v[160:161], v[152:153]
	scratch_store_b64 off, v[12:13], off offset:448 ; 8-byte Folded Spill
	v_fma_f64 v[160:161], v[235:236], s[48:49], v[12:13]
	v_mul_f64_e32 v[12:13], s[16:17], v[233:234]
	v_add_f64_e32 v[154:155], v[160:161], v[154:155]
	scratch_store_b64 off, v[12:13], off offset:392 ; 8-byte Folded Spill
	v_fma_f64 v[160:161], v[225:226], s[14:15], -v[12:13]
	v_mul_f64_e32 v[12:13], s[14:15], v[229:230]
	s_delay_alu instid0(VALU_DEP_2) | instskip(SKIP_3) | instid1(VALU_DEP_2)
	v_add_f64_e32 v[152:153], v[160:161], v[152:153]
	scratch_store_b64 off, v[12:13], off offset:424 ; 8-byte Folded Spill
	v_fma_f64 v[160:161], v[245:246], s[16:17], v[12:13]
	v_mul_f64_e32 v[12:13], s[44:45], v[243:244]
	v_add_f64_e32 v[154:155], v[160:161], v[154:155]
	scratch_store_b64 off, v[12:13], off offset:384 ; 8-byte Folded Spill
	v_fma_f64 v[160:161], v[231:232], s[26:27], -v[12:13]
	v_mul_f64_e32 v[12:13], s[26:27], v[237:238]
	s_delay_alu instid0(VALU_DEP_2) | instskip(NEXT) | instid1(VALU_DEP_2)
	v_add_f64_e32 v[160:161], v[160:161], v[152:153]
	v_fma_f64 v[152:153], v[247:248], s[44:45], v[12:13]
	scratch_store_b64 off, v[12:13], off offset:432 ; 8-byte Folded Spill
	global_wb scope:SCOPE_SE
	s_wait_storecnt 0x0
	s_barrier_signal -1
	s_barrier_wait -1
	global_inv scope:SCOPE_SE
	v_add_f64_e32 v[162:163], v[152:153], v[154:155]
	v_fma_f64 v[152:153], v[193:194], s[30:31], v[164:165]
	v_fma_f64 v[154:155], v[177:178], s[26:27], v[166:167]
	s_delay_alu instid0(VALU_DEP_2) | instskip(NEXT) | instid1(VALU_DEP_1)
	v_add_f64_e32 v[152:153], v[112:113], v[152:153]
	v_add_f64_e32 v[152:153], v[154:155], v[152:153]
	v_fma_f64 v[154:155], v[251:252], s[54:55], v[168:169]
	s_delay_alu instid0(VALU_DEP_1) | instskip(NEXT) | instid1(VALU_DEP_1)
	v_add_f64_e32 v[154:155], v[114:115], v[154:155]
	v_add_f64_e32 v[154:155], v[172:173], v[154:155]
	v_mul_f64_e32 v[172:173], s[10:11], v[185:186]
	s_delay_alu instid0(VALU_DEP_1) | instskip(NEXT) | instid1(VALU_DEP_1)
	v_fma_f64 v[174:175], v[183:184], s[2:3], v[172:173]
	v_add_f64_e32 v[152:153], v[174:175], v[152:153]
	v_mul_f64_e32 v[174:175], s[2:3], v[189:190]
	s_delay_alu instid0(VALU_DEP_1) | instskip(NEXT) | instid1(VALU_DEP_1)
	v_fma_f64 v[197:198], v[201:202], s[58:59], v[174:175]
	;; [unrolled: 4-line block ×9, first 2 shown]
	v_add_f64_e32 v[12:13], v[12:13], v[152:153]
	v_fma_f64 v[152:153], v[245:246], s[48:49], v[14:15]
	v_fma_f64 v[14:15], v[245:246], s[46:47], v[14:15]
	s_delay_alu instid0(VALU_DEP_2) | instskip(NEXT) | instid1(VALU_DEP_4)
	v_add_f64_e32 v[154:155], v[152:153], v[154:155]
	v_add_f64_e32 v[152:153], v[18:19], v[12:13]
	v_mul_f64_e32 v[12:13], s[18:19], v[237:238]
	s_delay_alu instid0(VALU_DEP_1) | instskip(SKIP_1) | instid1(VALU_DEP_2)
	v_fma_f64 v[18:19], v[247:248], s[24:25], v[12:13]
	v_fma_f64 v[12:13], v[247:248], s[20:21], v[12:13]
	v_add_f64_e32 v[154:155], v[18:19], v[154:155]
	v_fma_f64 v[18:19], v[193:194], s[30:31], -v[164:165]
	v_fma_f64 v[164:165], v[177:178], s[26:27], -v[166:167]
	v_fma_f64 v[166:167], v[187:188], s[44:45], v[170:171]
	s_delay_alu instid0(VALU_DEP_3) | instskip(NEXT) | instid1(VALU_DEP_1)
	v_add_f64_e32 v[18:19], v[112:113], v[18:19]
	v_add_f64_e32 v[18:19], v[164:165], v[18:19]
	v_fma_f64 v[164:165], v[251:252], s[36:37], v[168:169]
	s_delay_alu instid0(VALU_DEP_1) | instskip(NEXT) | instid1(VALU_DEP_1)
	v_add_f64_e32 v[164:165], v[114:115], v[164:165]
	v_add_f64_e32 v[164:165], v[166:167], v[164:165]
	v_fma_f64 v[166:167], v[183:184], s[2:3], -v[172:173]
	v_mul_f64_e32 v[172:173], s[22:23], v[181:182]
	s_delay_alu instid0(VALU_DEP_2) | instskip(SKIP_1) | instid1(VALU_DEP_3)
	v_add_f64_e32 v[18:19], v[166:167], v[18:19]
	v_fma_f64 v[166:167], v[201:202], s[10:11], v[174:175]
	v_fma_f64 v[170:171], v[187:188], s[52:53], v[172:173]
	v_mul_f64_e32 v[174:175], s[36:37], v[185:186]
	s_delay_alu instid0(VALU_DEP_3) | instskip(SKIP_2) | instid1(VALU_DEP_2)
	v_add_f64_e32 v[164:165], v[166:167], v[164:165]
	v_fma_f64 v[166:167], v[191:192], s[38:39], -v[197:198]
	v_mul_f64_e32 v[197:198], s[30:31], v[189:190]
	v_add_f64_e32 v[18:19], v[166:167], v[18:19]
	v_fma_f64 v[166:167], v[211:212], s[50:51], v[253:254]
	v_mul_f64_e32 v[253:254], s[26:27], v[221:222]
	s_delay_alu instid0(VALU_DEP_2) | instskip(SKIP_2) | instid1(VALU_DEP_2)
	v_add_f64_e32 v[164:165], v[166:167], v[164:165]
	v_fma_f64 v[166:167], v[207:208], s[22:23], -v[203:204]
	v_mul_f64_e32 v[203:204], s[46:47], v[199:200]
	v_add_f64_e32 v[18:19], v[166:167], v[18:19]
	v_fma_f64 v[166:167], v[227:228], s[52:53], v[213:214]
	v_mul_f64_e32 v[213:214], s[42:43], v[205:206]
	s_delay_alu instid0(VALU_DEP_2) | instskip(SKIP_2) | instid1(VALU_DEP_2)
	v_add_f64_e32 v[164:165], v[166:167], v[164:165]
	v_fma_f64 v[166:167], v[219:220], s[14:15], -v[217:218]
	v_mul_f64_e32 v[217:218], s[40:41], v[209:210]
	v_add_f64_e32 v[18:19], v[166:167], v[18:19]
	v_fma_f64 v[166:167], v[235:236], s[16:17], v[239:240]
	v_mul_f64_e32 v[239:240], s[38:39], v[215:216]
	s_delay_alu instid0(VALU_DEP_2) | instskip(SKIP_2) | instid1(VALU_DEP_3)
	v_add_f64_e32 v[164:165], v[166:167], v[164:165]
	v_fma_f64 v[166:167], v[225:226], s[42:43], -v[241:242]
	v_mul_f64_e32 v[241:242], s[44:45], v[223:224]
	v_add_f64_e32 v[14:15], v[14:15], v[164:165]
	s_delay_alu instid0(VALU_DEP_3) | instskip(NEXT) | instid1(VALU_DEP_2)
	v_add_f64_e32 v[18:19], v[166:167], v[18:19]
	v_add_f64_e32 v[166:167], v[12:13], v[14:15]
	v_mul_f64_e32 v[12:13], s[16:17], v[195:196]
	s_delay_alu instid0(VALU_DEP_3) | instskip(SKIP_1) | instid1(VALU_DEP_3)
	v_add_f64_e32 v[164:165], v[16:17], v[18:19]
	v_mul_f64_e32 v[16:17], s[34:35], v[179:180]
	v_fma_f64 v[14:15], v[193:194], s[14:15], v[12:13]
	v_fma_f64 v[12:13], v[193:194], s[14:15], -v[12:13]
	s_delay_alu instid0(VALU_DEP_3) | instskip(SKIP_1) | instid1(VALU_DEP_4)
	v_fma_f64 v[18:19], v[177:178], s[22:23], v[16:17]
	v_fma_f64 v[16:17], v[177:178], s[22:23], -v[16:17]
	v_add_f64_e32 v[14:15], v[112:113], v[14:15]
	s_delay_alu instid0(VALU_DEP_4) | instskip(NEXT) | instid1(VALU_DEP_2)
	v_add_f64_e32 v[12:13], v[112:113], v[12:13]
	v_add_f64_e32 v[14:15], v[18:19], v[14:15]
	v_mul_f64_e32 v[18:19], s[14:15], v[249:250]
	s_delay_alu instid0(VALU_DEP_3) | instskip(NEXT) | instid1(VALU_DEP_2)
	v_add_f64_e32 v[12:13], v[16:17], v[12:13]
	v_fma_f64 v[168:169], v[251:252], s[56:57], v[18:19]
	v_fma_f64 v[16:17], v[251:252], s[16:17], v[18:19]
	;; [unrolled: 1-line block ×3, first 2 shown]
	s_delay_alu instid0(VALU_DEP_3) | instskip(NEXT) | instid1(VALU_DEP_3)
	v_add_f64_e32 v[168:169], v[114:115], v[168:169]
	v_add_f64_e32 v[16:17], v[114:115], v[16:17]
	s_delay_alu instid0(VALU_DEP_2) | instskip(SKIP_1) | instid1(VALU_DEP_3)
	v_add_f64_e32 v[168:169], v[170:171], v[168:169]
	v_fma_f64 v[170:171], v[183:184], s[30:31], v[174:175]
	v_add_f64_e32 v[16:17], v[18:19], v[16:17]
	v_fma_f64 v[18:19], v[183:184], s[30:31], -v[174:175]
	s_delay_alu instid0(VALU_DEP_3) | instskip(SKIP_1) | instid1(VALU_DEP_3)
	v_add_f64_e32 v[14:15], v[170:171], v[14:15]
	v_fma_f64 v[170:171], v[201:202], s[54:55], v[197:198]
	v_add_f64_e32 v[12:13], v[18:19], v[12:13]
	v_fma_f64 v[18:19], v[201:202], s[36:37], v[197:198]
	s_delay_alu instid0(VALU_DEP_3) | instskip(SKIP_1) | instid1(VALU_DEP_3)
	v_add_f64_e32 v[168:169], v[170:171], v[168:169]
	v_fma_f64 v[170:171], v[191:192], s[42:43], v[203:204]
	v_add_f64_e32 v[16:17], v[18:19], v[16:17]
	v_fma_f64 v[18:19], v[191:192], s[42:43], -v[203:204]
	s_delay_alu instid0(VALU_DEP_3) | instskip(SKIP_1) | instid1(VALU_DEP_3)
	v_add_f64_e32 v[14:15], v[170:171], v[14:15]
	v_fma_f64 v[170:171], v[211:212], s[48:49], v[213:214]
	v_add_f64_e32 v[12:13], v[18:19], v[12:13]
	v_fma_f64 v[18:19], v[211:212], s[46:47], v[213:214]
	s_delay_alu instid0(VALU_DEP_3) | instskip(SKIP_1) | instid1(VALU_DEP_3)
	v_add_f64_e32 v[168:169], v[170:171], v[168:169]
	v_fma_f64 v[170:171], v[207:208], s[38:39], v[217:218]
	v_add_f64_e32 v[16:17], v[18:19], v[16:17]
	v_fma_f64 v[18:19], v[207:208], s[38:39], -v[217:218]
	s_delay_alu instid0(VALU_DEP_3) | instskip(SKIP_1) | instid1(VALU_DEP_3)
	v_add_f64_e32 v[14:15], v[170:171], v[14:15]
	v_fma_f64 v[170:171], v[227:228], s[50:51], v[239:240]
	v_add_f64_e32 v[12:13], v[18:19], v[12:13]
	v_fma_f64 v[18:19], v[227:228], s[40:41], v[239:240]
	s_delay_alu instid0(VALU_DEP_3) | instskip(SKIP_1) | instid1(VALU_DEP_3)
	v_add_f64_e32 v[168:169], v[170:171], v[168:169]
	v_fma_f64 v[170:171], v[219:220], s[26:27], v[241:242]
	v_add_f64_e32 v[16:17], v[18:19], v[16:17]
	v_fma_f64 v[18:19], v[219:220], s[26:27], -v[241:242]
	s_delay_alu instid0(VALU_DEP_3) | instskip(SKIP_1) | instid1(VALU_DEP_3)
	v_add_f64_e32 v[14:15], v[170:171], v[14:15]
	v_fma_f64 v[170:171], v[235:236], s[28:29], v[253:254]
	v_add_f64_e32 v[12:13], v[18:19], v[12:13]
	v_fma_f64 v[18:19], v[235:236], s[44:45], v[253:254]
	s_delay_alu instid0(VALU_DEP_4) | instskip(SKIP_2) | instid1(VALU_DEP_4)
	v_add_f64_e32 v[14:15], v[22:23], v[14:15]
	v_mul_f64_e32 v[22:23], s[18:19], v[229:230]
	v_add_f64_e32 v[168:169], v[170:171], v[168:169]
	v_add_f64_e32 v[16:17], v[18:19], v[16:17]
	v_fma_f64 v[18:19], v[225:226], s[18:19], -v[20:21]
	s_delay_alu instid0(VALU_DEP_4) | instskip(NEXT) | instid1(VALU_DEP_2)
	v_fma_f64 v[170:171], v[245:246], s[24:25], v[22:23]
	v_add_f64_e32 v[12:13], v[18:19], v[12:13]
	v_fma_f64 v[18:19], v[245:246], s[20:21], v[22:23]
	s_delay_alu instid0(VALU_DEP_3) | instskip(SKIP_2) | instid1(VALU_DEP_4)
	v_add_f64_e32 v[170:171], v[170:171], v[168:169]
	v_add_f64_e32 v[168:169], v[26:27], v[14:15]
	v_mul_f64_e32 v[14:15], s[2:3], v[237:238]
	v_add_f64_e32 v[16:17], v[18:19], v[16:17]
	v_fma_f64 v[18:19], v[231:232], s[2:3], -v[24:25]
	s_delay_alu instid0(VALU_DEP_3) | instskip(SKIP_1) | instid1(VALU_DEP_3)
	v_fma_f64 v[26:27], v[247:248], s[10:11], v[14:15]
	v_fma_f64 v[14:15], v[247:248], s[58:59], v[14:15]
	v_add_f64_e32 v[172:173], v[18:19], v[12:13]
	s_delay_alu instid0(VALU_DEP_3) | instskip(NEXT) | instid1(VALU_DEP_3)
	v_add_f64_e32 v[170:171], v[26:27], v[170:171]
	v_add_f64_e32 v[174:175], v[14:15], v[16:17]
	s_and_saveexec_b32 s1, vcc_lo
	s_cbranch_execz .LBB0_17
; %bb.16:
	v_add_f64_e32 v[12:13], v[114:115], v[118:119]
	v_add_f64_e32 v[14:15], v[112:113], v[116:117]
	v_mul_f64_e32 v[18:19], s[48:49], v[251:252]
	v_mul_f64_e32 v[20:21], s[52:53], v[251:252]
	;; [unrolled: 1-line block ×6, first 2 shown]
	s_clause 0x1
	scratch_load_b64 v[16:17], off, off offset:96 th:TH_LOAD_LU
	scratch_load_b64 v[118:119], off, off offset:360 th:TH_LOAD_LU
	v_add_f64_e32 v[12:13], v[12:13], v[122:123]
	v_add_f64_e32 v[14:15], v[14:15], v[120:121]
	scratch_load_b64 v[120:121], off, off offset:344 th:TH_LOAD_LU ; 8-byte Folded Reload
	v_fma_f64 v[24:25], v[249:250], s[42:43], v[18:19]
	v_fma_f64 v[18:19], v[249:250], s[42:43], -v[18:19]
	v_fma_f64 v[26:27], v[249:250], s[22:23], v[20:21]
	v_fma_f64 v[20:21], v[249:250], s[22:23], -v[20:21]
	scratch_load_b64 v[122:123], off, off offset:448 th:TH_LOAD_LU ; 8-byte Folded Reload
	v_add_f64_e32 v[12:13], v[12:13], v[126:127]
	v_add_f64_e32 v[14:15], v[14:15], v[124:125]
	v_mul_f64_e32 v[124:125], s[54:55], v[209:210]
	v_add_f64_e32 v[24:25], v[114:115], v[24:25]
	v_add_f64_e32 v[18:19], v[114:115], v[18:19]
	;; [unrolled: 1-line block ×4, first 2 shown]
	v_mul_f64_e32 v[126:127], s[24:25], v[235:236]
	v_add_f64_e32 v[12:13], v[12:13], v[130:131]
	v_add_f64_e32 v[14:15], v[14:15], v[128:129]
	v_mul_f64_e32 v[128:129], s[24:25], v[223:224]
	v_mul_f64_e32 v[130:131], s[44:45], v[245:246]
	s_delay_alu instid0(VALU_DEP_4) | instskip(NEXT) | instid1(VALU_DEP_4)
	v_add_f64_e32 v[12:13], v[12:13], v[134:135]
	v_add_f64_e32 v[14:15], v[14:15], v[132:133]
	v_mul_f64_e32 v[132:133], s[44:45], v[233:234]
	v_mul_f64_e32 v[134:135], s[34:35], v[247:248]
	s_delay_alu instid0(VALU_DEP_4) | instskip(NEXT) | instid1(VALU_DEP_4)
	v_add_f64_e32 v[12:13], v[12:13], v[138:139]
	v_add_f64_e32 v[14:15], v[14:15], v[136:137]
	v_mul_f64_e32 v[136:137], s[40:41], v[187:188]
	v_mul_f64_e32 v[138:139], s[40:41], v[179:180]
	s_delay_alu instid0(VALU_DEP_4) | instskip(NEXT) | instid1(VALU_DEP_4)
	v_add_f64_e32 v[12:13], v[12:13], v[142:143]
	v_add_f64_e32 v[14:15], v[14:15], v[140:141]
	v_mul_f64_e32 v[140:141], s[56:57], v[185:186]
	v_mul_f64_e32 v[142:143], s[24:25], v[211:212]
	s_delay_alu instid0(VALU_DEP_4) | instskip(NEXT) | instid1(VALU_DEP_4)
	v_add_f64_e32 v[12:13], v[12:13], v[146:147]
	v_add_f64_e32 v[14:15], v[14:15], v[144:145]
	v_mul_f64_e32 v[144:145], s[24:25], v[199:200]
	v_mul_f64_e32 v[146:147], s[46:47], v[227:228]
	s_delay_alu instid0(VALU_DEP_4) | instskip(NEXT) | instid1(VALU_DEP_4)
	v_add_f64_e32 v[12:13], v[12:13], v[110:111]
	v_add_f64_e32 v[14:15], v[14:15], v[108:109]
	scratch_load_b64 v[110:111], off, off offset:416 th:TH_LOAD_LU ; 8-byte Folded Reload
	v_add_f64_e32 v[12:13], v[12:13], v[106:107]
	v_add_f64_e32 v[14:15], v[14:15], v[104:105]
	s_delay_alu instid0(VALU_DEP_2) | instskip(NEXT) | instid1(VALU_DEP_2)
	v_add_f64_e32 v[12:13], v[12:13], v[102:103]
	v_add_f64_e32 v[14:15], v[14:15], v[100:101]
	s_delay_alu instid0(VALU_DEP_2) | instskip(NEXT) | instid1(VALU_DEP_2)
	v_add_f64_e32 v[12:13], v[12:13], v[98:99]
	v_add_f64_e32 v[14:15], v[14:15], v[96:97]
	v_mul_f64_e32 v[96:97], s[52:53], v[195:196]
	s_delay_alu instid0(VALU_DEP_3) | instskip(NEXT) | instid1(VALU_DEP_3)
	v_add_f64_e32 v[12:13], v[12:13], v[94:95]
	v_add_f64_e32 v[14:15], v[14:15], v[92:93]
	v_mul_f64_e32 v[94:95], s[48:49], v[195:196]
	s_delay_alu instid0(VALU_DEP_4)
	v_fma_f64 v[102:103], v[193:194], s[22:23], -v[96:97]
	v_mul_f64_e32 v[92:93], s[28:29], v[195:196]
	v_fma_f64 v[96:97], v[193:194], s[22:23], v[96:97]
	v_mul_f64_e32 v[195:196], s[52:53], v[235:236]
	v_add_f64_e32 v[10:11], v[12:13], v[10:11]
	v_add_f64_e32 v[8:9], v[14:15], v[8:9]
	s_clause 0x1
	scratch_load_b64 v[12:13], off, off offset:336 th:TH_LOAD_LU
	scratch_load_b64 v[14:15], off, off offset:144 th:TH_LOAD_LU
	v_fma_f64 v[100:101], v[193:194], s[42:43], -v[94:95]
	v_add_f64_e32 v[116:117], v[112:113], v[102:103]
	scratch_load_b64 v[102:103], off, off offset:368 th:TH_LOAD_LU ; 8-byte Folded Reload
	v_fma_f64 v[98:99], v[193:194], s[26:27], -v[92:93]
	v_fma_f64 v[94:95], v[193:194], s[42:43], v[94:95]
	v_fma_f64 v[92:93], v[193:194], s[26:27], v[92:93]
	v_add_f64_e32 v[6:7], v[10:11], v[6:7]
	v_add_f64_e32 v[4:5], v[8:9], v[4:5]
	s_clause 0x1
	scratch_load_b64 v[8:9], off, off offset:464 th:TH_LOAD_LU
	scratch_load_b64 v[10:11], off, off offset:352 th:TH_LOAD_LU
	v_add_f64_e32 v[108:109], v[112:113], v[100:101]
	scratch_load_b64 v[100:101], off, off offset:400 th:TH_LOAD_LU ; 8-byte Folded Reload
	v_add_f64_e32 v[104:105], v[112:113], v[98:99]
	v_add_f64_e32 v[98:99], v[112:113], v[94:95]
	scratch_load_b64 v[94:95], off, off offset:456 th:TH_LOAD_LU ; 8-byte Folded Reload
	v_add_f64_e32 v[106:107], v[112:113], v[92:93]
	v_mul_f64_e32 v[92:93], s[58:59], v[227:228]
	v_add_f64_e32 v[2:3], v[6:7], v[2:3]
	scratch_load_b64 v[6:7], off, off offset:472 th:TH_LOAD_LU ; 8-byte Folded Reload
	v_add_f64_e32 v[0:1], v[4:5], v[0:1]
	v_mul_f64_e32 v[4:5], s[40:41], v[251:252]
	s_wait_loadcnt 0x0
	s_delay_alu instid0(VALU_DEP_1) | instskip(SKIP_1) | instid1(VALU_DEP_2)
	v_add_f64_e64 v[4:5], v[6:7], -v[4:5]
	v_mul_f64_e32 v[6:7], s[38:39], v[193:194]
	v_add_f64_e32 v[4:5], v[114:115], v[4:5]
	s_delay_alu instid0(VALU_DEP_2) | instskip(SKIP_1) | instid1(VALU_DEP_2)
	v_add_f64_e32 v[6:7], v[6:7], v[8:9]
	v_mul_f64_e32 v[8:9], s[20:21], v[251:252]
	v_add_f64_e32 v[6:7], v[112:113], v[6:7]
	s_delay_alu instid0(VALU_DEP_2) | instskip(SKIP_1) | instid1(VALU_DEP_2)
	v_add_f64_e64 v[8:9], v[10:11], -v[8:9]
	v_mul_f64_e32 v[10:11], s[18:19], v[193:194]
	v_add_f64_e32 v[8:9], v[114:115], v[8:9]
	s_delay_alu instid0(VALU_DEP_2) | instskip(SKIP_1) | instid1(VALU_DEP_2)
	v_add_f64_e32 v[10:11], v[10:11], v[12:13]
	v_mul_f64_e32 v[12:13], s[10:11], v[251:252]
	v_add_f64_e32 v[10:11], v[112:113], v[10:11]
	s_delay_alu instid0(VALU_DEP_2) | instskip(SKIP_2) | instid1(VALU_DEP_3)
	v_add_f64_e64 v[12:13], v[14:15], -v[12:13]
	v_mul_f64_e32 v[14:15], s[2:3], v[193:194]
	v_mul_f64_e32 v[193:194], s[46:47], v[209:210]
	v_add_f64_e32 v[12:13], v[114:115], v[12:13]
	s_delay_alu instid0(VALU_DEP_3) | instskip(SKIP_1) | instid1(VALU_DEP_2)
	v_add_f64_e32 v[14:15], v[14:15], v[16:17]
	v_mul_f64_e32 v[16:17], s[28:29], v[251:252]
	v_add_f64_e32 v[14:15], v[112:113], v[14:15]
	v_add_f64_e32 v[112:113], v[112:113], v[96:97]
	scratch_load_b64 v[96:97], off, off offset:440 th:TH_LOAD_LU ; 8-byte Folded Reload
	v_fma_f64 v[22:23], v[249:250], s[26:27], v[16:17]
	v_fma_f64 v[16:17], v[249:250], s[26:27], -v[16:17]
	v_add_f64_e64 v[92:93], v[94:95], -v[92:93]
	v_mul_f64_e32 v[94:95], s[36:37], v[211:212]
	s_delay_alu instid0(VALU_DEP_4) | instskip(NEXT) | instid1(VALU_DEP_4)
	v_add_f64_e32 v[22:23], v[114:115], v[22:23]
	v_add_f64_e32 v[16:17], v[114:115], v[16:17]
	scratch_load_b64 v[114:115], off, off offset:376 th:TH_LOAD_LU ; 8-byte Folded Reload
	s_wait_loadcnt 0x1
	v_add_f64_e64 v[94:95], v[96:97], -v[94:95]
	v_mul_f64_e32 v[96:97], s[52:53], v[201:202]
	s_delay_alu instid0(VALU_DEP_1) | instskip(SKIP_1) | instid1(VALU_DEP_1)
	v_add_f64_e64 v[96:97], v[100:101], -v[96:97]
	v_mul_f64_e32 v[100:101], s[24:25], v[187:188]
	v_add_f64_e64 v[100:101], v[102:103], -v[100:101]
	v_mul_f64_e32 v[102:103], s[2:3], v[207:208]
	s_delay_alu instid0(VALU_DEP_2) | instskip(NEXT) | instid1(VALU_DEP_2)
	v_add_f64_e32 v[4:5], v[100:101], v[4:5]
	v_add_f64_e32 v[102:103], v[102:103], v[110:111]
	v_mul_f64_e32 v[110:111], s[30:31], v[191:192]
	v_mul_f64_e32 v[100:101], s[42:43], v[219:220]
	s_delay_alu instid0(VALU_DEP_4) | instskip(SKIP_2) | instid1(VALU_DEP_4)
	v_add_f64_e32 v[4:5], v[96:97], v[4:5]
	v_mul_f64_e32 v[96:97], s[16:17], v[245:246]
	s_wait_loadcnt 0x0
	v_add_f64_e32 v[110:111], v[110:111], v[114:115]
	v_mul_f64_e32 v[114:115], s[22:23], v[183:184]
	s_delay_alu instid0(VALU_DEP_4) | instskip(SKIP_1) | instid1(VALU_DEP_3)
	v_add_f64_e32 v[4:5], v[94:95], v[4:5]
	v_mul_f64_e32 v[94:95], s[14:15], v[225:226]
	v_add_f64_e32 v[114:115], v[114:115], v[118:119]
	v_mul_f64_e32 v[118:119], s[18:19], v[177:178]
	s_delay_alu instid0(VALU_DEP_4) | instskip(SKIP_1) | instid1(VALU_DEP_3)
	v_add_f64_e32 v[4:5], v[92:93], v[4:5]
	v_mul_f64_e32 v[92:93], s[44:45], v[247:248]
	v_add_f64_e32 v[118:119], v[118:119], v[120:121]
	v_mul_f64_e32 v[120:121], s[48:49], v[235:236]
	s_delay_alu instid0(VALU_DEP_2)
	v_add_f64_e32 v[6:7], v[118:119], v[6:7]
	scratch_load_b64 v[118:119], off, off offset:408 th:TH_LOAD_LU ; 8-byte Folded Reload
	v_add_f64_e32 v[6:7], v[114:115], v[6:7]
	scratch_load_b64 v[114:115], off, off offset:424 th:TH_LOAD_LU ; 8-byte Folded Reload
	;; [unrolled: 2-line block ×4, first 2 shown]
	v_add_f64_e64 v[120:121], v[122:123], -v[120:121]
	scratch_load_b64 v[122:123], off, off offset:304 th:TH_LOAD_LU ; 8-byte Folded Reload
	v_add_f64_e32 v[4:5], v[120:121], v[4:5]
	scratch_load_b64 v[120:121], off, off offset:224 th:TH_LOAD_LU ; 8-byte Folded Reload
	s_wait_loadcnt 0x5
	v_add_f64_e32 v[100:101], v[100:101], v[118:119]
	s_wait_loadcnt 0x4
	v_add_f64_e64 v[96:97], v[114:115], -v[96:97]
	s_delay_alu instid0(VALU_DEP_2)
	v_add_f64_e32 v[6:7], v[100:101], v[6:7]
	v_mul_f64_e32 v[100:101], s[26:27], v[231:232]
	s_clause 0x1
	scratch_load_b64 v[114:115], off, off offset:248 th:TH_LOAD_LU
	scratch_load_b64 v[118:119], off, off offset:232 th:TH_LOAD_LU
	v_add_f64_e32 v[4:5], v[96:97], v[4:5]
	scratch_load_b64 v[96:97], off, off offset:296 th:TH_LOAD_LU ; 8-byte Folded Reload
	s_wait_loadcnt 0x5
	v_add_f64_e64 v[92:93], v[102:103], -v[92:93]
	scratch_load_b64 v[102:103], off, off offset:384 th:TH_LOAD_LU ; 8-byte Folded Reload
	v_add_f64_e32 v[94:95], v[94:95], v[110:111]
	scratch_load_b64 v[110:111], off, off offset:288 th:TH_LOAD_LU ; 8-byte Folded Reload
	v_add_f64_e32 v[94:95], v[94:95], v[6:7]
	v_add_f64_e32 v[6:7], v[92:93], v[4:5]
	v_mul_f64_e32 v[92:93], s[16:17], v[227:228]
	s_wait_loadcnt 0x1
	v_add_f64_e32 v[100:101], v[100:101], v[102:103]
	scratch_load_b64 v[102:103], off, off offset:240 th:TH_LOAD_LU ; 8-byte Folded Reload
	v_add_f64_e32 v[4:5], v[100:101], v[94:95]
	s_clause 0x1
	scratch_load_b64 v[94:95], off, off offset:328 th:TH_LOAD_LU
	scratch_load_b64 v[100:101], off, off offset:264 th:TH_LOAD_LU
	s_wait_loadcnt 0x1
	v_add_f64_e64 v[92:93], v[94:95], -v[92:93]
	v_mul_f64_e32 v[94:95], s[28:29], v[211:212]
	s_delay_alu instid0(VALU_DEP_1) | instskip(SKIP_2) | instid1(VALU_DEP_1)
	v_add_f64_e64 v[94:95], v[96:97], -v[94:95]
	v_mul_f64_e32 v[96:97], s[46:47], v[201:202]
	s_wait_loadcnt 0x0
	v_add_f64_e64 v[96:97], v[100:101], -v[96:97]
	v_mul_f64_e32 v[100:101], s[54:55], v[187:188]
	s_delay_alu instid0(VALU_DEP_1) | instskip(SKIP_1) | instid1(VALU_DEP_2)
	v_add_f64_e64 v[100:101], v[102:103], -v[100:101]
	v_mul_f64_e32 v[102:103], s[14:15], v[207:208]
	v_add_f64_e32 v[8:9], v[100:101], v[8:9]
	s_delay_alu instid0(VALU_DEP_2) | instskip(SKIP_2) | instid1(VALU_DEP_4)
	v_add_f64_e32 v[102:103], v[102:103], v[110:111]
	v_mul_f64_e32 v[110:111], s[26:27], v[191:192]
	v_mul_f64_e32 v[100:101], s[2:3], v[219:220]
	v_add_f64_e32 v[8:9], v[96:97], v[8:9]
	v_mul_f64_e32 v[96:97], s[52:53], v[245:246]
	s_delay_alu instid0(VALU_DEP_4) | instskip(SKIP_1) | instid1(VALU_DEP_4)
	v_add_f64_e32 v[110:111], v[110:111], v[114:115]
	v_mul_f64_e32 v[114:115], s[42:43], v[183:184]
	v_add_f64_e32 v[8:9], v[94:95], v[8:9]
	v_mul_f64_e32 v[94:95], s[22:23], v[225:226]
	s_delay_alu instid0(VALU_DEP_3) | instskip(SKIP_1) | instid1(VALU_DEP_4)
	v_add_f64_e32 v[114:115], v[114:115], v[118:119]
	v_mul_f64_e32 v[118:119], s[30:31], v[177:178]
	v_add_f64_e32 v[8:9], v[92:93], v[8:9]
	v_mul_f64_e32 v[92:93], s[40:41], v[247:248]
	s_delay_alu instid0(VALU_DEP_3) | instskip(SKIP_1) | instid1(VALU_DEP_2)
	v_add_f64_e32 v[118:119], v[118:119], v[120:121]
	v_mul_f64_e32 v[120:121], s[58:59], v[235:236]
	v_add_f64_e32 v[10:11], v[118:119], v[10:11]
	scratch_load_b64 v[118:119], off, off offset:272 th:TH_LOAD_LU ; 8-byte Folded Reload
	v_add_f64_e32 v[10:11], v[114:115], v[10:11]
	scratch_load_b64 v[114:115], off, off offset:312 th:TH_LOAD_LU ; 8-byte Folded Reload
	;; [unrolled: 2-line block ×3, first 2 shown]
	v_add_f64_e64 v[120:121], v[122:123], -v[120:121]
	scratch_load_b64 v[122:123], off, off offset:192 th:TH_LOAD_LU ; 8-byte Folded Reload
	v_add_f64_e32 v[10:11], v[102:103], v[10:11]
	scratch_load_b64 v[102:103], off, off offset:320 th:TH_LOAD_LU ; 8-byte Folded Reload
	v_add_f64_e32 v[8:9], v[120:121], v[8:9]
	s_wait_loadcnt 0x3
	v_add_f64_e64 v[96:97], v[114:115], -v[96:97]
	s_wait_loadcnt 0x2
	v_add_f64_e32 v[94:95], v[94:95], v[110:111]
	s_delay_alu instid0(VALU_DEP_2)
	v_add_f64_e32 v[8:9], v[96:97], v[8:9]
	s_clause 0x2
	scratch_load_b64 v[96:97], off, off offset:152 th:TH_LOAD_LU
	scratch_load_b64 v[110:111], off, off offset:160 th:TH_LOAD_LU
	;; [unrolled: 1-line block ×3, first 2 shown]
	s_wait_loadcnt 0x3
	v_add_f64_e64 v[92:93], v[102:103], -v[92:93]
	scratch_load_b64 v[102:103], off, off offset:256 th:TH_LOAD_LU ; 8-byte Folded Reload
	v_add_f64_e32 v[100:101], v[100:101], v[118:119]
	s_clause 0x1
	scratch_load_b64 v[118:119], off, off offset:120 th:TH_LOAD_LU
	scratch_load_b64 v[120:121], off, off offset:104 th:TH_LOAD_LU
	v_add_f64_e32 v[10:11], v[100:101], v[10:11]
	v_mul_f64_e32 v[100:101], s[38:39], v[231:232]
	s_delay_alu instid0(VALU_DEP_2) | instskip(SKIP_3) | instid1(VALU_DEP_4)
	v_add_f64_e32 v[94:95], v[94:95], v[10:11]
	v_add_f64_e32 v[10:11], v[92:93], v[8:9]
	v_mul_f64_e32 v[92:93], s[28:29], v[227:228]
	s_wait_loadcnt 0x2
	v_add_f64_e32 v[100:101], v[100:101], v[102:103]
	scratch_load_b64 v[102:103], off, off offset:112 th:TH_LOAD_LU ; 8-byte Folded Reload
	v_add_f64_e32 v[8:9], v[100:101], v[94:95]
	s_clause 0x1
	scratch_load_b64 v[94:95], off, off offset:176 th:TH_LOAD_LU
	scratch_load_b64 v[100:101], off, off offset:128 th:TH_LOAD_LU
	s_wait_loadcnt 0x1
	v_add_f64_e64 v[92:93], v[94:95], -v[92:93]
	v_mul_f64_e32 v[94:95], s[34:35], v[211:212]
	s_delay_alu instid0(VALU_DEP_1) | instskip(SKIP_2) | instid1(VALU_DEP_1)
	v_add_f64_e64 v[94:95], v[96:97], -v[94:95]
	v_mul_f64_e32 v[96:97], s[24:25], v[201:202]
	s_wait_loadcnt 0x0
	v_add_f64_e64 v[96:97], v[100:101], -v[96:97]
	v_mul_f64_e32 v[100:101], s[16:17], v[187:188]
	s_delay_alu instid0(VALU_DEP_1) | instskip(SKIP_1) | instid1(VALU_DEP_2)
	v_add_f64_e64 v[100:101], v[102:103], -v[100:101]
	v_mul_f64_e32 v[102:103], s[26:27], v[207:208]
	v_add_f64_e32 v[12:13], v[100:101], v[12:13]
	s_delay_alu instid0(VALU_DEP_2) | instskip(SKIP_2) | instid1(VALU_DEP_4)
	v_add_f64_e32 v[102:103], v[102:103], v[110:111]
	v_mul_f64_e32 v[110:111], s[22:23], v[191:192]
	v_mul_f64_e32 v[100:101], s[30:31], v[219:220]
	v_add_f64_e32 v[12:13], v[96:97], v[12:13]
	v_mul_f64_e32 v[96:97], s[50:51], v[245:246]
	s_delay_alu instid0(VALU_DEP_4) | instskip(SKIP_1) | instid1(VALU_DEP_4)
	v_add_f64_e32 v[110:111], v[110:111], v[114:115]
	v_mul_f64_e32 v[114:115], s[18:19], v[183:184]
	v_add_f64_e32 v[12:13], v[94:95], v[12:13]
	v_mul_f64_e32 v[94:95], s[38:39], v[225:226]
	s_delay_alu instid0(VALU_DEP_3) | instskip(SKIP_1) | instid1(VALU_DEP_4)
	v_add_f64_e32 v[114:115], v[114:115], v[118:119]
	v_mul_f64_e32 v[118:119], s[14:15], v[177:178]
	v_add_f64_e32 v[12:13], v[92:93], v[12:13]
	v_mul_f64_e32 v[92:93], s[46:47], v[247:248]
	s_delay_alu instid0(VALU_DEP_3) | instskip(SKIP_1) | instid1(VALU_DEP_2)
	v_add_f64_e32 v[118:119], v[118:119], v[120:121]
	v_mul_f64_e32 v[120:121], s[36:37], v[235:236]
	v_add_f64_e32 v[14:15], v[118:119], v[14:15]
	scratch_load_b64 v[118:119], off, off offset:168 th:TH_LOAD_LU ; 8-byte Folded Reload
	v_add_f64_e32 v[14:15], v[114:115], v[14:15]
	scratch_load_b64 v[114:115], off, off offset:208 th:TH_LOAD_LU ; 8-byte Folded Reload
	v_add_f64_e32 v[14:15], v[110:111], v[14:15]
	s_delay_alu instid0(VALU_DEP_1)
	v_add_f64_e32 v[14:15], v[102:103], v[14:15]
	scratch_load_b64 v[102:103], off, off offset:216 th:TH_LOAD_LU ; 8-byte Folded Reload
	s_wait_loadcnt 0x1
	v_add_f64_e64 v[96:97], v[114:115], -v[96:97]
	v_mul_f64_e32 v[114:115], s[40:41], v[185:186]
	s_wait_loadcnt 0x0
	v_add_f64_e64 v[92:93], v[102:103], -v[92:93]
	s_clause 0x1
	scratch_load_b64 v[102:103], off, off offset:200 th:TH_LOAD_LU
	scratch_load_b64 v[110:111], off, off offset:184 th:TH_LOAD_LU
	v_add_f64_e64 v[120:121], v[122:123], -v[120:121]
	v_add_f64_e32 v[100:101], v[100:101], v[118:119]
	v_mul_f64_e32 v[118:119], s[16:17], v[211:212]
	v_mul_f64_e32 v[122:123], s[54:55], v[227:228]
	s_delay_alu instid0(VALU_DEP_4) | instskip(NEXT) | instid1(VALU_DEP_4)
	v_add_f64_e32 v[12:13], v[120:121], v[12:13]
	v_add_f64_e32 v[14:15], v[100:101], v[14:15]
	v_mul_f64_e32 v[100:101], s[42:43], v[231:232]
	v_mul_f64_e32 v[120:121], s[16:17], v[199:200]
	s_delay_alu instid0(VALU_DEP_4) | instskip(SKIP_1) | instid1(VALU_DEP_3)
	v_add_f64_e32 v[12:13], v[96:97], v[12:13]
	s_wait_loadcnt 0x1
	v_add_f64_e32 v[100:101], v[100:101], v[102:103]
	s_wait_loadcnt 0x0
	v_add_f64_e32 v[94:95], v[94:95], v[110:111]
	v_mul_f64_e32 v[110:111], s[40:41], v[201:202]
	s_delay_alu instid0(VALU_DEP_2) | instskip(SKIP_2) | instid1(VALU_DEP_3)
	v_add_f64_e32 v[14:15], v[94:95], v[14:15]
	v_add_f64_e32 v[94:95], v[92:93], v[12:13]
	v_mul_f64_e32 v[12:13], s[10:11], v[187:188]
	v_add_f64_e32 v[92:93], v[100:101], v[14:15]
	s_delay_alu instid0(VALU_DEP_2) | instskip(SKIP_1) | instid1(VALU_DEP_2)
	v_fma_f64 v[14:15], v[181:182], s[2:3], -v[12:13]
	v_fma_f64 v[12:13], v[181:182], s[2:3], v[12:13]
	v_add_f64_e32 v[14:15], v[14:15], v[18:19]
	v_mul_f64_e32 v[18:19], s[10:11], v[179:180]
	s_delay_alu instid0(VALU_DEP_3) | instskip(NEXT) | instid1(VALU_DEP_2)
	v_add_f64_e32 v[12:13], v[12:13], v[24:25]
	v_fma_f64 v[96:97], v[177:178], s[2:3], v[18:19]
	s_delay_alu instid0(VALU_DEP_1) | instskip(SKIP_1) | instid1(VALU_DEP_1)
	v_add_f64_e32 v[96:97], v[96:97], v[98:99]
	v_fma_f64 v[98:99], v[189:190], s[38:39], -v[110:111]
	v_add_f64_e32 v[14:15], v[98:99], v[14:15]
	v_fma_f64 v[98:99], v[183:184], s[38:39], v[114:115]
	s_delay_alu instid0(VALU_DEP_1) | instskip(SKIP_1) | instid1(VALU_DEP_1)
	v_add_f64_e32 v[96:97], v[98:99], v[96:97]
	v_fma_f64 v[98:99], v[205:206], s[14:15], -v[118:119]
	v_add_f64_e32 v[14:15], v[98:99], v[14:15]
	v_fma_f64 v[98:99], v[191:192], s[14:15], v[120:121]
	s_delay_alu instid0(VALU_DEP_1) | instskip(SKIP_1) | instid1(VALU_DEP_1)
	v_add_f64_e32 v[96:97], v[98:99], v[96:97]
	v_fma_f64 v[98:99], v[215:216], s[30:31], -v[122:123]
	v_add_f64_e32 v[14:15], v[98:99], v[14:15]
	v_fma_f64 v[98:99], v[207:208], s[30:31], v[124:125]
	s_delay_alu instid0(VALU_DEP_1) | instskip(SKIP_1) | instid1(VALU_DEP_1)
	v_add_f64_e32 v[96:97], v[98:99], v[96:97]
	v_fma_f64 v[98:99], v[221:222], s[18:19], -v[126:127]
	v_add_f64_e32 v[14:15], v[98:99], v[14:15]
	v_fma_f64 v[98:99], v[219:220], s[18:19], v[128:129]
	s_delay_alu instid0(VALU_DEP_1) | instskip(SKIP_1) | instid1(VALU_DEP_1)
	v_add_f64_e32 v[96:97], v[98:99], v[96:97]
	v_fma_f64 v[98:99], v[229:230], s[26:27], -v[130:131]
	v_add_f64_e32 v[14:15], v[98:99], v[14:15]
	v_fma_f64 v[98:99], v[225:226], s[26:27], v[132:133]
	s_delay_alu instid0(VALU_DEP_1) | instskip(SKIP_1) | instid1(VALU_DEP_1)
	v_add_f64_e32 v[96:97], v[98:99], v[96:97]
	v_fma_f64 v[98:99], v[237:238], s[22:23], -v[134:135]
	v_add_f64_e32 v[98:99], v[98:99], v[14:15]
	v_mul_f64_e32 v[14:15], s[34:35], v[243:244]
	s_delay_alu instid0(VALU_DEP_1) | instskip(SKIP_1) | instid1(VALU_DEP_2)
	v_fma_f64 v[100:101], v[231:232], s[22:23], v[14:15]
	v_fma_f64 v[14:15], v[231:232], s[22:23], -v[14:15]
	v_add_f64_e32 v[96:97], v[100:101], v[96:97]
	v_fma_f64 v[100:101], v[181:182], s[38:39], -v[136:137]
	v_fma_f64 v[136:137], v[181:182], s[38:39], v[136:137]
	s_delay_alu instid0(VALU_DEP_2) | instskip(SKIP_1) | instid1(VALU_DEP_3)
	v_add_f64_e32 v[16:17], v[100:101], v[16:17]
	v_fma_f64 v[100:101], v[177:178], s[38:39], v[138:139]
	v_add_f64_e32 v[22:23], v[136:137], v[22:23]
	v_fma_f64 v[136:137], v[177:178], s[38:39], -v[138:139]
	s_delay_alu instid0(VALU_DEP_3) | instskip(SKIP_1) | instid1(VALU_DEP_3)
	v_add_f64_e32 v[100:101], v[100:101], v[106:107]
	v_mul_f64_e32 v[106:107], s[56:57], v[201:202]
	v_add_f64_e32 v[104:105], v[136:137], v[104:105]
	s_delay_alu instid0(VALU_DEP_2) | instskip(SKIP_1) | instid1(VALU_DEP_2)
	v_fma_f64 v[102:103], v[189:190], s[14:15], -v[106:107]
	v_fma_f64 v[106:107], v[189:190], s[14:15], v[106:107]
	v_add_f64_e32 v[16:17], v[102:103], v[16:17]
	v_fma_f64 v[102:103], v[183:184], s[14:15], v[140:141]
	s_delay_alu instid0(VALU_DEP_3) | instskip(SKIP_1) | instid1(VALU_DEP_3)
	v_add_f64_e32 v[22:23], v[106:107], v[22:23]
	v_fma_f64 v[106:107], v[183:184], s[14:15], -v[140:141]
	v_add_f64_e32 v[100:101], v[102:103], v[100:101]
	v_fma_f64 v[102:103], v[205:206], s[18:19], -v[142:143]
	s_delay_alu instid0(VALU_DEP_3) | instskip(SKIP_1) | instid1(VALU_DEP_3)
	v_add_f64_e32 v[104:105], v[106:107], v[104:105]
	v_fma_f64 v[106:107], v[205:206], s[18:19], v[142:143]
	v_add_f64_e32 v[16:17], v[102:103], v[16:17]
	v_fma_f64 v[102:103], v[191:192], s[18:19], v[144:145]
	s_delay_alu instid0(VALU_DEP_3) | instskip(SKIP_1) | instid1(VALU_DEP_3)
	v_add_f64_e32 v[22:23], v[106:107], v[22:23]
	v_fma_f64 v[106:107], v[191:192], s[18:19], -v[144:145]
	v_add_f64_e32 v[100:101], v[102:103], v[100:101]
	v_fma_f64 v[102:103], v[215:216], s[42:43], -v[146:147]
	s_delay_alu instid0(VALU_DEP_3) | instskip(SKIP_1) | instid1(VALU_DEP_3)
	v_add_f64_e32 v[104:105], v[106:107], v[104:105]
	v_fma_f64 v[106:107], v[215:216], s[42:43], v[146:147]
	v_add_f64_e32 v[16:17], v[102:103], v[16:17]
	v_fma_f64 v[102:103], v[207:208], s[42:43], v[193:194]
	s_delay_alu instid0(VALU_DEP_3) | instskip(SKIP_1) | instid1(VALU_DEP_3)
	v_add_f64_e32 v[22:23], v[106:107], v[22:23]
	v_fma_f64 v[106:107], v[207:208], s[42:43], -v[193:194]
	v_add_f64_e32 v[100:101], v[102:103], v[100:101]
	v_fma_f64 v[102:103], v[221:222], s[22:23], -v[195:196]
	s_delay_alu instid0(VALU_DEP_3) | instskip(SKIP_1) | instid1(VALU_DEP_3)
	v_add_f64_e32 v[104:105], v[106:107], v[104:105]
	v_fma_f64 v[106:107], v[221:222], s[22:23], v[195:196]
	v_add_f64_e32 v[16:17], v[102:103], v[16:17]
	v_fma_f64 v[102:103], v[219:220], s[22:23], v[197:198]
	s_delay_alu instid0(VALU_DEP_3) | instskip(SKIP_1) | instid1(VALU_DEP_3)
	v_add_f64_e32 v[22:23], v[106:107], v[22:23]
	v_fma_f64 v[106:107], v[219:220], s[22:23], -v[197:198]
	v_add_f64_e32 v[100:101], v[102:103], v[100:101]
	v_fma_f64 v[102:103], v[229:230], s[2:3], -v[203:204]
	s_delay_alu instid0(VALU_DEP_3) | instskip(SKIP_1) | instid1(VALU_DEP_3)
	v_add_f64_e32 v[104:105], v[106:107], v[104:105]
	v_fma_f64 v[106:107], v[229:230], s[2:3], v[203:204]
	v_add_f64_e32 v[16:17], v[102:103], v[16:17]
	v_fma_f64 v[102:103], v[225:226], s[2:3], v[213:214]
	s_delay_alu instid0(VALU_DEP_3) | instskip(SKIP_1) | instid1(VALU_DEP_3)
	v_add_f64_e32 v[22:23], v[106:107], v[22:23]
	v_fma_f64 v[106:107], v[225:226], s[2:3], -v[213:214]
	v_add_f64_e32 v[100:101], v[102:103], v[100:101]
	v_fma_f64 v[102:103], v[237:238], s[30:31], -v[217:218]
	s_delay_alu instid0(VALU_DEP_3) | instskip(SKIP_1) | instid1(VALU_DEP_3)
	v_add_f64_e32 v[104:105], v[106:107], v[104:105]
	v_fma_f64 v[106:107], v[237:238], s[30:31], v[217:218]
	v_add_f64_e32 v[102:103], v[102:103], v[16:17]
	v_mul_f64_e32 v[16:17], s[36:37], v[243:244]
	s_delay_alu instid0(VALU_DEP_3) | instskip(NEXT) | instid1(VALU_DEP_2)
	v_add_f64_e32 v[106:107], v[106:107], v[22:23]
	v_fma_f64 v[239:240], v[231:232], s[30:31], v[16:17]
	v_fma_f64 v[16:17], v[231:232], s[30:31], -v[16:17]
	s_delay_alu instid0(VALU_DEP_2) | instskip(NEXT) | instid1(VALU_DEP_2)
	v_add_f64_e32 v[100:101], v[239:240], v[100:101]
	v_add_f64_e32 v[104:105], v[16:17], v[104:105]
	v_fma_f64 v[16:17], v[177:178], s[2:3], -v[18:19]
	v_fma_f64 v[18:19], v[189:190], s[38:39], v[110:111]
	s_delay_alu instid0(VALU_DEP_2) | instskip(NEXT) | instid1(VALU_DEP_2)
	v_add_f64_e32 v[16:17], v[16:17], v[108:109]
	v_add_f64_e32 v[12:13], v[18:19], v[12:13]
	v_fma_f64 v[18:19], v[183:184], s[38:39], -v[114:115]
	s_delay_alu instid0(VALU_DEP_1) | instskip(SKIP_2) | instid1(VALU_DEP_2)
	v_add_f64_e32 v[16:17], v[18:19], v[16:17]
	v_fma_f64 v[18:19], v[205:206], s[14:15], v[118:119]
	v_mul_f64_e32 v[118:119], s[10:11], v[199:200]
	v_add_f64_e32 v[12:13], v[18:19], v[12:13]
	v_fma_f64 v[18:19], v[191:192], s[14:15], -v[120:121]
	v_mul_f64_e32 v[120:121], s[20:21], v[227:228]
	s_delay_alu instid0(VALU_DEP_2) | instskip(SKIP_2) | instid1(VALU_DEP_2)
	v_add_f64_e32 v[16:17], v[18:19], v[16:17]
	v_fma_f64 v[18:19], v[215:216], s[30:31], v[122:123]
	v_mul_f64_e32 v[122:123], s[20:21], v[209:210]
	v_add_f64_e32 v[12:13], v[18:19], v[12:13]
	v_fma_f64 v[18:19], v[207:208], s[30:31], -v[124:125]
	v_mul_f64_e32 v[124:125], s[40:41], v[235:236]
	s_delay_alu instid0(VALU_DEP_2) | instskip(SKIP_2) | instid1(VALU_DEP_2)
	;; [unrolled: 7-line block ×3, first 2 shown]
	v_add_f64_e32 v[16:17], v[18:19], v[16:17]
	v_fma_f64 v[18:19], v[229:230], s[26:27], v[130:131]
	v_mul_f64_e32 v[130:131], s[36:37], v[233:234]
	v_add_f64_e32 v[12:13], v[18:19], v[12:13]
	v_fma_f64 v[18:19], v[225:226], s[26:27], -v[132:133]
	v_mul_f64_e32 v[132:133], s[16:17], v[247:248]
	s_delay_alu instid0(VALU_DEP_2) | instskip(SKIP_2) | instid1(VALU_DEP_3)
	v_add_f64_e32 v[16:17], v[18:19], v[16:17]
	v_fma_f64 v[18:19], v[237:238], s[22:23], v[134:135]
	v_mul_f64_e32 v[134:135], s[16:17], v[243:244]
	v_add_f64_e32 v[108:109], v[14:15], v[16:17]
	s_delay_alu instid0(VALU_DEP_3) | instskip(SKIP_2) | instid1(VALU_DEP_2)
	v_add_f64_e32 v[110:111], v[18:19], v[12:13]
	v_mul_f64_e32 v[12:13], s[48:49], v[187:188]
	v_mul_f64_e32 v[16:17], s[48:49], v[179:180]
	v_fma_f64 v[14:15], v[181:182], s[42:43], -v[12:13]
	s_delay_alu instid0(VALU_DEP_2) | instskip(SKIP_1) | instid1(VALU_DEP_3)
	v_fma_f64 v[18:19], v[177:178], s[42:43], v[16:17]
	v_fma_f64 v[12:13], v[181:182], s[42:43], v[12:13]
	v_add_f64_e32 v[14:15], v[14:15], v[20:21]
	v_mul_f64_e32 v[20:21], s[28:29], v[201:202]
	s_delay_alu instid0(VALU_DEP_4) | instskip(NEXT) | instid1(VALU_DEP_4)
	v_add_f64_e32 v[18:19], v[18:19], v[112:113]
	v_add_f64_e32 v[12:13], v[12:13], v[26:27]
	s_delay_alu instid0(VALU_DEP_3) | instskip(NEXT) | instid1(VALU_DEP_1)
	v_fma_f64 v[22:23], v[189:190], s[26:27], -v[20:21]
	v_add_f64_e32 v[14:15], v[22:23], v[14:15]
	v_mul_f64_e32 v[22:23], s[28:29], v[185:186]
	s_delay_alu instid0(VALU_DEP_1) | instskip(NEXT) | instid1(VALU_DEP_1)
	v_fma_f64 v[24:25], v[183:184], s[26:27], v[22:23]
	v_add_f64_e32 v[18:19], v[24:25], v[18:19]
	v_mul_f64_e32 v[24:25], s[10:11], v[211:212]
	s_delay_alu instid0(VALU_DEP_1) | instskip(NEXT) | instid1(VALU_DEP_1)
	v_fma_f64 v[112:113], v[205:206], s[2:3], -v[24:25]
	v_add_f64_e32 v[14:15], v[112:113], v[14:15]
	v_fma_f64 v[112:113], v[191:192], s[2:3], v[118:119]
	s_delay_alu instid0(VALU_DEP_1) | instskip(SKIP_1) | instid1(VALU_DEP_1)
	v_add_f64_e32 v[18:19], v[112:113], v[18:19]
	v_fma_f64 v[112:113], v[215:216], s[18:19], -v[120:121]
	v_add_f64_e32 v[14:15], v[112:113], v[14:15]
	v_fma_f64 v[112:113], v[207:208], s[18:19], v[122:123]
	s_delay_alu instid0(VALU_DEP_1) | instskip(SKIP_1) | instid1(VALU_DEP_1)
	v_add_f64_e32 v[18:19], v[112:113], v[18:19]
	;; [unrolled: 5-line block ×4, first 2 shown]
	v_fma_f64 v[112:113], v[237:238], s[14:15], -v[132:133]
	v_add_f64_e32 v[114:115], v[112:113], v[14:15]
	v_fma_f64 v[14:15], v[231:232], s[14:15], v[134:135]
	s_delay_alu instid0(VALU_DEP_1)
	v_add_f64_e32 v[112:113], v[14:15], v[18:19]
	v_fma_f64 v[14:15], v[177:178], s[42:43], -v[16:17]
	v_fma_f64 v[16:17], v[189:190], s[26:27], v[20:21]
	v_fma_f64 v[20:21], v[205:206], s[2:3], v[24:25]
	v_fma_f64 v[18:19], v[183:184], s[26:27], -v[22:23]
	v_fma_f64 v[22:23], v[191:192], s[2:3], -v[118:119]
	v_add_f64_e32 v[14:15], v[14:15], v[116:117]
	v_add_f64_e32 v[12:13], v[16:17], v[12:13]
	v_fma_f64 v[16:17], v[215:216], s[18:19], v[120:121]
	s_delay_alu instid0(VALU_DEP_3) | instskip(NEXT) | instid1(VALU_DEP_3)
	v_add_f64_e32 v[14:15], v[18:19], v[14:15]
	v_add_f64_e32 v[12:13], v[20:21], v[12:13]
	v_fma_f64 v[20:21], v[221:222], s[38:39], v[124:125]
	v_fma_f64 v[18:19], v[207:208], s[18:19], -v[122:123]
	s_delay_alu instid0(VALU_DEP_4) | instskip(NEXT) | instid1(VALU_DEP_4)
	v_add_f64_e32 v[14:15], v[22:23], v[14:15]
	v_add_f64_e32 v[12:13], v[16:17], v[12:13]
	v_fma_f64 v[16:17], v[229:230], s[30:31], v[128:129]
	v_fma_f64 v[22:23], v[219:220], s[38:39], -v[126:127]
	s_delay_alu instid0(VALU_DEP_4) | instskip(NEXT) | instid1(VALU_DEP_4)
	;; [unrolled: 5-line block ×3, first 2 shown]
	v_add_f64_e32 v[14:15], v[22:23], v[14:15]
	v_add_f64_e32 v[12:13], v[16:17], v[12:13]
	v_fma_f64 v[22:23], v[231:232], s[14:15], -v[134:135]
	s_delay_alu instid0(VALU_DEP_3) | instskip(NEXT) | instid1(VALU_DEP_3)
	v_add_f64_e32 v[14:15], v[18:19], v[14:15]
	v_add_f64_e32 v[118:119], v[20:21], v[12:13]
	scratch_load_b32 v12, off, off offset:12 th:TH_LOAD_LU ; 4-byte Folded Reload
	v_add_f64_e32 v[116:117], v[22:23], v[14:15]
	s_wait_loadcnt 0x0
	v_and_b32_e32 v12, 0xffff, v12
	s_delay_alu instid0(VALU_DEP_1)
	v_lshlrev_b32_e32 v12, 4, v12
	ds_store_b128 v12, v[96:99] offset:32
	ds_store_b128 v12, v[100:103] offset:48
	;; [unrolled: 1-line block ×15, first 2 shown]
	ds_store_b128 v12, v[0:3]
	ds_store_b128 v12, v[116:119] offset:256
.LBB0_17:
	s_wait_alu 0xfffe
	s_or_b32 exec_lo, exec_lo, s1
	global_wb scope:SCOPE_SE
	s_wait_dscnt 0x0
	s_barrier_signal -1
	s_barrier_wait -1
	global_inv scope:SCOPE_SE
	ds_load_b128 v[0:3], v255
	ds_load_b128 v[100:103], v255 offset:2448
	ds_load_b128 v[96:99], v255 offset:4896
	;; [unrolled: 1-line block ×6, first 2 shown]
	s_and_saveexec_b32 s1, s0
	s_cbranch_execz .LBB0_19
; %bb.18:
	ds_load_b128 v[152:155], v255 offset:1904
	ds_load_b128 v[168:171], v255 offset:4352
	;; [unrolled: 1-line block ×7, first 2 shown]
.LBB0_19:
	s_wait_alu 0xfffe
	s_or_b32 exec_lo, exec_lo, s1
	s_wait_dscnt 0x5
	v_mul_f64_e32 v[12:13], v[50:51], v[102:103]
	v_mul_f64_e32 v[14:15], v[50:51], v[100:101]
	s_wait_dscnt 0x4
	v_mul_f64_e32 v[16:17], v[42:43], v[98:99]
	v_mul_f64_e32 v[18:19], v[42:43], v[96:97]
	;; [unrolled: 3-line block ×3, first 2 shown]
	v_mul_f64_e32 v[24:25], v[38:39], v[94:95]
	v_mul_f64_e32 v[26:27], v[38:39], v[92:93]
	v_mul_f64_e32 v[38:39], v[58:59], v[10:11]
	v_mul_f64_e32 v[42:43], v[58:59], v[8:9]
	v_mul_f64_e32 v[46:47], v[54:55], v[6:7]
	v_mul_f64_e32 v[50:51], v[54:55], v[4:5]
	s_mov_b32 s10, 0x37e14327
	s_mov_b32 s16, 0xe976ee23
	;; [unrolled: 1-line block ×16, first 2 shown]
	s_wait_alu 0xfffe
	s_mov_b32 s22, s18
	s_mov_b32 s26, s24
	;; [unrolled: 1-line block ×4, first 2 shown]
	global_wb scope:SCOPE_SE
	s_barrier_signal -1
	s_barrier_wait -1
	global_inv scope:SCOPE_SE
	v_fma_f64 v[12:13], v[48:49], v[100:101], v[12:13]
	v_fma_f64 v[14:15], v[48:49], v[102:103], -v[14:15]
	v_fma_f64 v[16:17], v[40:41], v[96:97], v[16:17]
	v_fma_f64 v[18:19], v[40:41], v[98:99], -v[18:19]
	;; [unrolled: 2-line block ×6, first 2 shown]
	v_add_f64_e32 v[36:37], v[12:13], v[20:21]
	v_add_f64_e32 v[38:39], v[14:15], v[22:23]
	;; [unrolled: 1-line block ×4, first 2 shown]
	v_add_f64_e64 v[16:17], v[16:17], -v[24:25]
	v_add_f64_e64 v[18:19], v[18:19], -v[26:27]
	v_add_f64_e32 v[24:25], v[8:9], v[4:5]
	v_add_f64_e32 v[26:27], v[10:11], v[6:7]
	v_add_f64_e64 v[4:5], v[4:5], -v[8:9]
	v_add_f64_e64 v[6:7], v[6:7], -v[10:11]
	v_add_f64_e64 v[8:9], v[12:13], -v[20:21]
	v_add_f64_e64 v[10:11], v[14:15], -v[22:23]
	v_add_f64_e32 v[12:13], v[40:41], v[36:37]
	v_add_f64_e32 v[14:15], v[42:43], v[38:39]
	v_add_f64_e64 v[20:21], v[36:37], -v[24:25]
	v_add_f64_e64 v[22:23], v[38:39], -v[26:27]
	;; [unrolled: 1-line block ×6, first 2 shown]
	v_add_f64_e32 v[16:17], v[4:5], v[16:17]
	v_add_f64_e32 v[18:19], v[6:7], v[18:19]
	v_add_f64_e64 v[4:5], v[8:9], -v[4:5]
	v_add_f64_e64 v[6:7], v[10:11], -v[6:7]
	;; [unrolled: 1-line block ×4, first 2 shown]
	v_add_f64_e32 v[12:13], v[24:25], v[12:13]
	v_add_f64_e32 v[14:15], v[26:27], v[14:15]
	v_add_f64_e64 v[24:25], v[24:25], -v[40:41]
	v_add_f64_e64 v[26:27], v[26:27], -v[42:43]
	v_mul_f64_e32 v[20:21], s[10:11], v[20:21]
	v_mul_f64_e32 v[22:23], s[10:11], v[22:23]
	;; [unrolled: 1-line block ×6, first 2 shown]
	v_add_f64_e32 v[8:9], v[16:17], v[8:9]
	v_add_f64_e32 v[10:11], v[18:19], v[10:11]
	;; [unrolled: 1-line block ×4, first 2 shown]
	v_mul_f64_e32 v[40:41], s[20:21], v[24:25]
	v_mul_f64_e32 v[42:43], s[20:21], v[26:27]
	v_fma_f64 v[16:17], v[24:25], s[20:21], v[20:21]
	v_fma_f64 v[18:19], v[26:27], s[20:21], v[22:23]
	v_fma_f64 v[24:25], v[4:5], s[24:25], v[44:45]
	v_fma_f64 v[26:27], v[6:7], s[24:25], v[46:47]
	v_fma_f64 v[44:45], v[48:49], s[2:3], -v[44:45]
	v_fma_f64 v[46:47], v[50:51], s[2:3], -v[46:47]
	s_wait_alu 0xfffe
	v_fma_f64 v[4:5], v[4:5], s[26:27], -v[52:53]
	v_fma_f64 v[6:7], v[6:7], s[26:27], -v[54:55]
	;; [unrolled: 1-line block ×4, first 2 shown]
	v_fma_f64 v[12:13], v[12:13], s[14:15], v[0:1]
	v_fma_f64 v[14:15], v[14:15], s[14:15], v[2:3]
	v_fma_f64 v[36:37], v[36:37], s[18:19], -v[40:41]
	v_fma_f64 v[38:39], v[38:39], s[18:19], -v[42:43]
	v_fma_f64 v[24:25], v[8:9], s[28:29], v[24:25]
	v_fma_f64 v[26:27], v[10:11], s[28:29], v[26:27]
	v_fma_f64 v[42:43], v[8:9], s[28:29], v[44:45]
	v_fma_f64 v[40:41], v[10:11], s[28:29], v[46:47]
	v_fma_f64 v[46:47], v[8:9], s[28:29], v[4:5]
	v_fma_f64 v[44:45], v[10:11], s[28:29], v[6:7]
	v_add_f64_e32 v[16:17], v[16:17], v[12:13]
	v_add_f64_e32 v[18:19], v[18:19], v[14:15]
	;; [unrolled: 1-line block ×7, first 2 shown]
	v_add_f64_e64 v[6:7], v[18:19], -v[24:25]
	v_add_f64_e32 v[8:9], v[44:45], v[20:21]
	v_add_f64_e64 v[10:11], v[22:23], -v[46:47]
	v_add_f64_e64 v[36:37], v[12:13], -v[40:41]
	v_add_f64_e32 v[38:39], v[42:43], v[14:15]
	v_add_f64_e32 v[40:41], v[40:41], v[12:13]
	v_add_f64_e64 v[42:43], v[14:15], -v[42:43]
	v_add_f64_e64 v[44:45], v[20:21], -v[44:45]
	v_add_f64_e32 v[46:47], v[46:47], v[22:23]
	v_add_f64_e64 v[48:49], v[16:17], -v[26:27]
	v_add_f64_e32 v[50:51], v[24:25], v[18:19]
	ds_store_b128 v176, v[0:3]
	ds_store_b128 v176, v[4:7] offset:272
	ds_store_b128 v176, v[8:11] offset:544
	;; [unrolled: 1-line block ×6, first 2 shown]
	s_and_saveexec_b32 s1, s0
	s_cbranch_execz .LBB0_21
; %bb.20:
	s_clause 0x2
	scratch_load_b128 v[40:43], off, off offset:64 th:TH_LOAD_LU
	scratch_load_b128 v[36:39], off, off offset:48 th:TH_LOAD_LU
	;; [unrolled: 1-line block ×3, first 2 shown]
	v_mul_f64_e32 v[4:5], v[34:35], v[156:157]
	v_mul_f64_e32 v[14:15], v[34:35], v[158:159]
	;; [unrolled: 1-line block ×4, first 2 shown]
	s_delay_alu instid0(VALU_DEP_4) | instskip(NEXT) | instid1(VALU_DEP_4)
	v_fma_f64 v[4:5], v[32:33], v[158:159], -v[4:5]
	v_fma_f64 v[14:15], v[32:33], v[156:157], v[14:15]
	s_delay_alu instid0(VALU_DEP_4) | instskip(NEXT) | instid1(VALU_DEP_4)
	v_fma_f64 v[18:19], v[28:29], v[164:165], v[18:19]
	v_fma_f64 v[20:21], v[28:29], v[166:167], -v[20:21]
	s_wait_loadcnt 0x2
	v_mul_f64_e32 v[0:1], v[42:43], v[148:149]
	v_mul_f64_e32 v[10:11], v[42:43], v[150:151]
	scratch_load_b128 v[42:45], off, off offset:80 th:TH_LOAD_LU ; 16-byte Folded Reload
	s_wait_loadcnt 0x2
	v_mul_f64_e32 v[2:3], v[38:39], v[168:169]
	s_wait_loadcnt 0x1
	v_mul_f64_e32 v[6:7], v[26:27], v[172:173]
	v_mul_f64_e32 v[8:9], v[38:39], v[170:171]
	v_mul_f64_e32 v[12:13], v[26:27], v[174:175]
	v_fma_f64 v[0:1], v[40:41], v[150:151], -v[0:1]
	v_fma_f64 v[10:11], v[40:41], v[148:149], v[10:11]
	v_fma_f64 v[2:3], v[36:37], v[170:171], -v[2:3]
	v_fma_f64 v[6:7], v[24:25], v[174:175], -v[6:7]
	v_fma_f64 v[8:9], v[36:37], v[168:169], v[8:9]
	v_fma_f64 v[12:13], v[24:25], v[172:173], v[12:13]
	s_delay_alu instid0(VALU_DEP_4) | instskip(NEXT) | instid1(VALU_DEP_4)
	v_add_f64_e32 v[24:25], v[2:3], v[0:1]
	v_add_f64_e32 v[26:27], v[6:7], v[4:5]
	s_delay_alu instid0(VALU_DEP_4) | instskip(NEXT) | instid1(VALU_DEP_4)
	v_add_f64_e32 v[28:29], v[8:9], v[10:11]
	v_add_f64_e32 v[30:31], v[12:13], v[14:15]
	v_add_f64_e64 v[12:13], v[12:13], -v[14:15]
	v_add_f64_e64 v[8:9], v[8:9], -v[10:11]
	;; [unrolled: 1-line block ×4, first 2 shown]
	v_add_f64_e32 v[10:11], v[26:27], v[24:25]
	v_add_f64_e32 v[0:1], v[30:31], v[28:29]
	v_add_f64_e64 v[34:35], v[12:13], -v[8:9]
	s_delay_alu instid0(VALU_DEP_4) | instskip(NEXT) | instid1(VALU_DEP_1)
	v_add_f64_e64 v[38:39], v[4:5], -v[6:7]
	v_mul_f64_e32 v[46:47], s[2:3], v[38:39]
	s_wait_loadcnt 0x0
	v_mul_f64_e32 v[16:17], v[44:45], v[162:163]
	v_mul_f64_e32 v[22:23], v[44:45], v[160:161]
	v_mul_f64_e32 v[44:45], s[2:3], v[34:35]
	s_delay_alu instid0(VALU_DEP_3) | instskip(NEXT) | instid1(VALU_DEP_3)
	v_fma_f64 v[16:17], v[42:43], v[160:161], v[16:17]
	v_fma_f64 v[22:23], v[42:43], v[162:163], -v[22:23]
	s_delay_alu instid0(VALU_DEP_2) | instskip(NEXT) | instid1(VALU_DEP_2)
	v_add_f64_e64 v[32:33], v[16:17], -v[18:19]
	v_add_f64_e32 v[14:15], v[20:21], v[22:23]
	v_add_f64_e32 v[16:17], v[18:19], v[16:17]
	v_add_f64_e64 v[18:19], v[22:23], -v[20:21]
	s_delay_alu instid0(VALU_DEP_4) | instskip(NEXT) | instid1(VALU_DEP_4)
	v_add_f64_e64 v[2:3], v[32:33], -v[12:13]
	v_add_f64_e64 v[20:21], v[24:25], -v[14:15]
	s_delay_alu instid0(VALU_DEP_4)
	v_add_f64_e64 v[22:23], v[28:29], -v[16:17]
	v_add_f64_e32 v[10:11], v[14:15], v[10:11]
	v_add_f64_e64 v[14:15], v[14:15], -v[26:27]
	v_add_f64_e64 v[36:37], v[18:19], -v[4:5]
	v_add_f64_e32 v[40:41], v[16:17], v[0:1]
	v_add_f64_e64 v[16:17], v[16:17], -v[30:31]
	v_add_f64_e64 v[42:43], v[8:9], -v[32:33]
	v_add_f64_e32 v[12:13], v[32:33], v[12:13]
	v_add_f64_e32 v[4:5], v[18:19], v[4:5]
	v_add_f64_e64 v[18:19], v[6:7], -v[18:19]
	v_add_f64_e64 v[24:25], v[26:27], -v[24:25]
	;; [unrolled: 1-line block ×3, first 2 shown]
	v_mul_f64_e32 v[32:33], s[16:17], v[2:3]
	v_mul_f64_e32 v[20:21], s[10:11], v[20:21]
	;; [unrolled: 1-line block ×3, first 2 shown]
	v_add_f64_e32 v[2:3], v[154:155], v[10:11]
	v_mul_f64_e32 v[26:27], s[20:21], v[14:15]
	v_mul_f64_e32 v[36:37], s[16:17], v[36:37]
	v_add_f64_e32 v[0:1], v[152:153], v[40:41]
	v_mul_f64_e32 v[30:31], s[20:21], v[16:17]
	v_add_f64_e32 v[8:9], v[12:13], v[8:9]
	v_add_f64_e32 v[4:5], v[4:5], v[6:7]
	v_fma_f64 v[6:7], v[42:43], s[24:25], v[32:33]
	v_fma_f64 v[12:13], v[14:15], s[20:21], v[20:21]
	;; [unrolled: 1-line block ×3, first 2 shown]
	v_fma_f64 v[16:17], v[42:43], s[26:27], -v[44:45]
	v_fma_f64 v[32:33], v[34:35], s[2:3], -v[32:33]
	v_fma_f64 v[10:11], v[10:11], s[14:15], v[2:3]
	v_fma_f64 v[20:21], v[24:25], s[22:23], -v[20:21]
	v_fma_f64 v[24:25], v[24:25], s[18:19], -v[26:27]
	v_fma_f64 v[26:27], v[18:19], s[24:25], v[36:37]
	;; [unrolled: 3-line block ×4, first 2 shown]
	v_fma_f64 v[16:17], v[8:9], s[28:29], v[16:17]
	v_fma_f64 v[8:9], v[8:9], s[28:29], v[32:33]
	v_add_f64_e32 v[12:13], v[12:13], v[10:11]
	v_add_f64_e32 v[20:21], v[20:21], v[10:11]
	;; [unrolled: 1-line block ×3, first 2 shown]
	v_fma_f64 v[32:33], v[4:5], s[28:29], v[26:27]
	v_fma_f64 v[38:39], v[4:5], s[28:29], v[18:19]
	;; [unrolled: 1-line block ×3, first 2 shown]
	v_add_f64_e32 v[34:35], v[14:15], v[36:37]
	v_add_f64_e32 v[40:41], v[22:23], v[36:37]
	;; [unrolled: 1-line block ×5, first 2 shown]
	v_add_f64_e64 v[22:23], v[20:21], -v[16:17]
	v_add_f64_e64 v[26:27], v[12:13], -v[30:31]
	;; [unrolled: 1-line block ×3, first 2 shown]
	v_add_f64_e32 v[18:19], v[8:9], v[24:25]
	v_add_f64_e32 v[24:25], v[32:33], v[34:35]
	;; [unrolled: 1-line block ×3, first 2 shown]
	v_add_f64_e64 v[16:17], v[28:29], -v[4:5]
	v_add_f64_e32 v[12:13], v[4:5], v[28:29]
	s_clause 0x1
	scratch_load_b32 v28, off, off offset:24 th:TH_LOAD_LU
	scratch_load_b32 v29, off, off offset:16 th:TH_LOAD_LU
	v_add_f64_e64 v[8:9], v[40:41], -v[38:39]
	v_add_f64_e64 v[4:5], v[34:35], -v[32:33]
	s_wait_loadcnt 0x1
	v_mul_u32_u24_e32 v28, 0x77, v28
	s_wait_loadcnt 0x0
	s_delay_alu instid0(VALU_DEP_1)
	v_add_lshl_u32 v28, v28, v29, 4
	ds_store_b128 v28, v[0:3]
	ds_store_b128 v28, v[24:27] offset:272
	ds_store_b128 v28, v[20:23] offset:544
	ds_store_b128 v28, v[16:19] offset:816
	ds_store_b128 v28, v[12:15] offset:1088
	ds_store_b128 v28, v[8:11] offset:1360
	ds_store_b128 v28, v[4:7] offset:1632
.LBB0_21:
	s_wait_alu 0xfffe
	s_or_b32 exec_lo, exec_lo, s1
	global_wb scope:SCOPE_SE
	s_wait_dscnt 0x0
	s_barrier_signal -1
	s_barrier_wait -1
	global_inv scope:SCOPE_SE
	ds_load_b128 v[0:3], v255 offset:1904
	ds_load_b128 v[4:7], v255 offset:15232
	ds_load_b128 v[8:11], v255 offset:3808
	ds_load_b128 v[12:15], v255 offset:7616
	ds_load_b128 v[16:19], v255 offset:9520
	ds_load_b128 v[20:23], v255 offset:13328
	ds_load_b128 v[24:27], v255 offset:5712
	s_mov_b32 s0, 0x8c811c17
	s_mov_b32 s10, 0xa2cf5039
	;; [unrolled: 1-line block ×8, first 2 shown]
	s_wait_dscnt 0x6
	v_mul_f64_e32 v[28:29], v[70:71], v[2:3]
	v_mul_f64_e32 v[30:31], v[70:71], v[0:1]
	s_wait_dscnt 0x5
	v_mul_f64_e32 v[32:33], v[82:83], v[6:7]
	v_mul_f64_e32 v[34:35], v[82:83], v[4:5]
	;; [unrolled: 3-line block ×3, first 2 shown]
	s_wait_dscnt 0x3
	v_mul_f64_e32 v[40:41], v[74:75], v[14:15]
	s_wait_dscnt 0x2
	v_mul_f64_e32 v[42:43], v[90:91], v[18:19]
	v_mul_f64_e32 v[44:45], v[74:75], v[12:13]
	;; [unrolled: 1-line block ×3, first 2 shown]
	s_wait_dscnt 0x1
	v_mul_f64_e32 v[48:49], v[86:87], v[22:23]
	v_mul_f64_e32 v[50:51], v[86:87], v[20:21]
	v_fma_f64 v[28:29], v[68:69], v[0:1], v[28:29]
	v_fma_f64 v[30:31], v[68:69], v[2:3], -v[30:31]
	v_fma_f64 v[4:5], v[80:81], v[4:5], v[32:33]
	v_fma_f64 v[6:7], v[80:81], v[6:7], -v[34:35]
	;; [unrolled: 2-line block ×3, first 2 shown]
	v_fma_f64 v[12:13], v[72:73], v[12:13], v[40:41]
	v_fma_f64 v[16:17], v[88:89], v[16:17], v[42:43]
	v_fma_f64 v[14:15], v[72:73], v[14:15], -v[44:45]
	v_fma_f64 v[18:19], v[88:89], v[18:19], -v[46:47]
	v_fma_f64 v[20:21], v[84:85], v[20:21], v[48:49]
	v_fma_f64 v[22:23], v[84:85], v[22:23], -v[50:51]
	ds_load_b128 v[0:3], v255 offset:11424
	s_wait_dscnt 0x1
	v_mul_f64_e32 v[32:33], v[66:67], v[26:27]
	v_mul_f64_e32 v[34:35], v[66:67], v[24:25]
	v_add_f64_e64 v[40:41], v[28:29], -v[4:5]
	v_add_f64_e64 v[42:43], v[30:31], -v[6:7]
	v_add_f64_e32 v[28:29], v[28:29], v[4:5]
	v_add_f64_e32 v[30:31], v[30:31], v[6:7]
	ds_load_b128 v[4:7], v255
	s_wait_dscnt 0x1
	v_mul_f64_e32 v[36:37], v[62:63], v[2:3]
	v_mul_f64_e32 v[38:39], v[62:63], v[0:1]
	v_add_f64_e32 v[44:45], v[12:13], v[16:17]
	v_add_f64_e64 v[46:47], v[12:13], -v[16:17]
	v_add_f64_e64 v[48:49], v[14:15], -v[18:19]
	v_add_f64_e32 v[50:51], v[8:9], v[20:21]
	v_add_f64_e32 v[52:53], v[10:11], v[22:23]
	v_add_f64_e32 v[54:55], v[14:15], v[18:19]
	v_fma_f64 v[24:25], v[64:65], v[24:25], v[32:33]
	v_fma_f64 v[26:27], v[64:65], v[26:27], -v[34:35]
	v_add_f64_e64 v[8:9], v[8:9], -v[20:21]
	v_add_f64_e64 v[10:11], v[10:11], -v[22:23]
	s_wait_alu 0xfffe
	v_mul_f64_e32 v[20:21], s[2:3], v[40:41]
	v_mul_f64_e32 v[22:23], s[2:3], v[42:43]
	s_wait_dscnt 0x0
	v_fma_f64 v[32:33], v[28:29], s[10:11], v[4:5]
	v_fma_f64 v[34:35], v[30:31], s[10:11], v[6:7]
	s_mov_b32 s3, 0xbfe491b7
	v_fma_f64 v[0:1], v[60:61], v[0:1], v[36:37]
	v_fma_f64 v[2:3], v[60:61], v[2:3], -v[38:39]
	v_fma_f64 v[36:37], v[44:45], s[10:11], v[4:5]
	v_mul_f64_e32 v[38:39], s[0:1], v[46:47]
	v_mul_f64_e32 v[56:57], s[0:1], v[48:49]
	v_fma_f64 v[58:59], v[50:51], s[10:11], v[4:5]
	v_fma_f64 v[60:61], v[52:53], s[10:11], v[6:7]
	;; [unrolled: 1-line block ×3, first 2 shown]
	s_wait_alu 0xfffe
	v_mul_f64_e32 v[64:65], s[2:3], v[48:49]
	v_mul_f64_e32 v[66:67], s[2:3], v[46:47]
	v_add_f64_e32 v[72:73], v[50:51], v[28:29]
	v_add_f64_e32 v[74:75], v[52:53], v[30:31]
	s_mov_b32 s10, 0x7e0b738b
	s_mov_b32 s11, 0x3fc63a1a
	v_fma_f64 v[20:21], v[8:9], s[0:1], v[20:21]
	v_fma_f64 v[22:23], v[10:11], s[0:1], v[22:23]
	v_add_f64_e32 v[68:69], v[24:25], v[0:1]
	v_add_f64_e32 v[70:71], v[26:27], v[2:3]
	v_add_f64_e64 v[0:1], v[24:25], -v[0:1]
	v_add_f64_e64 v[2:3], v[26:27], -v[2:3]
	s_wait_alu 0xfffe
	v_fma_f64 v[24:25], v[50:51], s[10:11], v[32:33]
	v_fma_f64 v[26:27], v[52:53], s[10:11], v[34:35]
	v_fma_f64 v[32:33], v[28:29], s[10:11], v[36:37]
	v_fma_f64 v[34:35], v[8:9], s[2:3], -v[38:39]
	v_fma_f64 v[36:37], v[10:11], s[2:3], -v[56:57]
	v_fma_f64 v[38:39], v[44:45], s[10:11], v[58:59]
	v_fma_f64 v[56:57], v[54:55], s[10:11], v[60:61]
	;; [unrolled: 1-line block ×5, first 2 shown]
	v_add_f64_e32 v[80:81], v[44:45], v[72:73]
	v_add_f64_e32 v[82:83], v[54:55], v[74:75]
	s_mov_b32 s0, 0xe8584cab
	s_mov_b32 s1, 0x3febb67a
	;; [unrolled: 1-line block ×3, first 2 shown]
	s_wait_alu 0xfffe
	s_mov_b32 s2, s0
	v_add_f64_e32 v[64:65], v[46:47], v[40:41]
	v_add_f64_e32 v[66:67], v[48:49], v[42:43]
	s_mov_b32 s10, 0x748a0bf8
	s_mov_b32 s11, 0x3fd5e3a8
	v_add_f64_e32 v[72:73], v[68:69], v[72:73]
	v_add_f64_e32 v[74:75], v[70:71], v[74:75]
	v_fma_f64 v[20:21], v[0:1], s[0:1], v[20:21]
	v_fma_f64 v[22:23], v[2:3], s[0:1], v[22:23]
	v_fma_f64 v[24:25], v[68:69], -0.5, v[24:25]
	v_fma_f64 v[26:27], v[70:71], -0.5, v[26:27]
	;; [unrolled: 1-line block ×3, first 2 shown]
	v_fma_f64 v[34:35], v[0:1], s[0:1], v[34:35]
	v_fma_f64 v[36:37], v[2:3], s[0:1], v[36:37]
	v_fma_f64 v[38:39], v[68:69], -0.5, v[38:39]
	v_fma_f64 v[56:57], v[70:71], -0.5, v[56:57]
	v_add_f64_e32 v[76:77], v[4:5], v[68:69]
	v_add_f64_e32 v[78:79], v[6:7], v[70:71]
	v_fma_f64 v[58:59], v[70:71], -0.5, v[58:59]
	s_wait_alu 0xfffe
	v_fma_f64 v[2:3], v[2:3], s[2:3], v[60:61]
	v_fma_f64 v[0:1], v[0:1], s[2:3], v[62:63]
	v_add_f64_e64 v[60:61], v[64:65], -v[8:9]
	v_add_f64_e64 v[62:63], v[66:67], -v[10:11]
	v_add_f64_e32 v[12:13], v[12:13], v[72:73]
	v_add_f64_e32 v[14:15], v[14:15], v[74:75]
	v_fma_f64 v[46:47], v[46:47], s[10:11], v[20:21]
	v_fma_f64 v[48:49], v[48:49], s[10:11], v[22:23]
	;; [unrolled: 1-line block ×9, first 2 shown]
	v_fma_f64 v[64:65], v[80:81], -0.5, v[76:77]
	v_fma_f64 v[66:67], v[82:83], -0.5, v[78:79]
	v_fma_f64 v[34:35], v[52:53], s[14:15], v[58:59]
	v_fma_f64 v[36:37], v[10:11], s[10:11], v[2:3]
	;; [unrolled: 1-line block ×3, first 2 shown]
	v_mul_f64_e32 v[40:41], s[0:1], v[60:61]
	v_mul_f64_e32 v[42:43], s[0:1], v[62:63]
	v_add_f64_e32 v[44:45], v[16:17], v[12:13]
	v_add_f64_e32 v[50:51], v[18:19], v[14:15]
	v_add_f64_e64 v[8:9], v[20:21], -v[48:49]
	v_add_f64_e32 v[10:11], v[46:47], v[22:23]
	v_add_f64_e64 v[12:13], v[28:29], -v[32:33]
	v_add_f64_e32 v[14:15], v[26:27], v[30:31]
	v_fma_f64 v[0:1], v[62:63], s[2:3], v[64:65]
	v_fma_f64 v[2:3], v[60:61], s[0:1], v[66:67]
	v_add_f64_e64 v[16:17], v[24:25], -v[36:37]
	v_add_f64_e32 v[18:19], v[38:39], v[34:35]
	v_add_f64_e32 v[4:5], v[4:5], v[44:45]
	;; [unrolled: 1-line block ×3, first 2 shown]
	v_fma_f64 v[24:25], v[48:49], 2.0, v[8:9]
	v_fma_f64 v[28:29], v[32:33], 2.0, v[12:13]
	v_fma_f64 v[30:31], v[26:27], -2.0, v[14:15]
	v_fma_f64 v[26:27], v[46:47], -2.0, v[10:11]
	v_fma_f64 v[20:21], v[42:43], 2.0, v[0:1]
	v_fma_f64 v[22:23], v[40:41], -2.0, v[2:3]
	v_fma_f64 v[32:33], v[36:37], 2.0, v[16:17]
	v_fma_f64 v[34:35], v[38:39], -2.0, v[18:19]
	ds_store_b128 v255, v[4:7]
	ds_store_b128 v255, v[8:11] offset:1904
	ds_store_b128 v255, v[16:19] offset:3808
	;; [unrolled: 1-line block ×8, first 2 shown]
	global_wb scope:SCOPE_SE
	s_wait_dscnt 0x0
	s_barrier_signal -1
	s_barrier_wait -1
	global_inv scope:SCOPE_SE
	s_and_b32 exec_lo, exec_lo, vcc_lo
	s_cbranch_execz .LBB0_23
; %bb.22:
	global_load_b128 v[0:3], v255, s[8:9]
	ds_load_b128 v[4:7], v255
	ds_load_b128 v[8:11], v255 offset:1008
	ds_load_b128 v[12:15], v255 offset:16128
	s_mov_b32 s0, 0x1e98801f
	s_mov_b32 s1, 0x3f4e9880
	s_mul_u64 s[2:3], s[4:5], 0x3f0
	scratch_load_b32 v19, off, off th:TH_LOAD_LU ; 4-byte Folded Reload
	s_wait_loadcnt_dscnt 0x102
	v_mul_f64_e32 v[16:17], v[6:7], v[2:3]
	v_mul_f64_e32 v[2:3], v[4:5], v[2:3]
	s_delay_alu instid0(VALU_DEP_2) | instskip(NEXT) | instid1(VALU_DEP_2)
	v_fma_f64 v[4:5], v[4:5], v[0:1], v[16:17]
	v_fma_f64 v[2:3], v[0:1], v[6:7], -v[2:3]
	scratch_load_b64 v[0:1], off, off offset:4 th:TH_LOAD_LU ; 8-byte Folded Reload
	s_wait_loadcnt 0x1
	v_mad_co_u64_u32 v[16:17], null, s4, v19, 0
	s_wait_alu 0xfffe
	v_mul_f64_e32 v[2:3], s[0:1], v[2:3]
	s_wait_loadcnt 0x0
	v_mov_b32_e32 v18, v0
	v_mul_f64_e32 v[0:1], s[0:1], v[4:5]
	s_delay_alu instid0(VALU_DEP_4) | instskip(NEXT) | instid1(VALU_DEP_3)
	v_mov_b32_e32 v5, v17
	v_mad_co_u64_u32 v[6:7], null, s6, v18, 0
	s_delay_alu instid0(VALU_DEP_1) | instskip(NEXT) | instid1(VALU_DEP_1)
	v_mov_b32_e32 v4, v7
	v_mad_co_u64_u32 v[17:18], null, s7, v18, v[4:5]
	s_delay_alu instid0(VALU_DEP_3) | instskip(NEXT) | instid1(VALU_DEP_2)
	v_mad_co_u64_u32 v[4:5], null, s5, v19, v[5:6]
	v_mov_b32_e32 v7, v17
	s_delay_alu instid0(VALU_DEP_2) | instskip(NEXT) | instid1(VALU_DEP_2)
	v_mov_b32_e32 v17, v4
	v_lshlrev_b64_e32 v[4:5], 4, v[6:7]
	s_delay_alu instid0(VALU_DEP_2) | instskip(NEXT) | instid1(VALU_DEP_2)
	v_lshlrev_b64_e32 v[6:7], 4, v[16:17]
	v_add_co_u32 v4, vcc_lo, s12, v4
	s_delay_alu instid0(VALU_DEP_3) | instskip(NEXT) | instid1(VALU_DEP_2)
	v_add_co_ci_u32_e32 v5, vcc_lo, s13, v5, vcc_lo
	v_add_co_u32 v4, vcc_lo, v4, v6
	s_wait_alu 0xfffd
	s_delay_alu instid0(VALU_DEP_2) | instskip(NEXT) | instid1(VALU_DEP_2)
	v_add_co_ci_u32_e32 v5, vcc_lo, v5, v7, vcc_lo
	v_add_co_u32 v16, vcc_lo, v4, s2
	global_store_b128 v[4:5], v[0:3], off
	s_wait_alu 0xfffd
	v_add_co_ci_u32_e32 v17, vcc_lo, s3, v5, vcc_lo
	global_load_b128 v[0:3], v255, s[8:9] offset:1008
	s_wait_loadcnt_dscnt 0x1
	v_mul_f64_e32 v[6:7], v[10:11], v[2:3]
	v_mul_f64_e32 v[2:3], v[8:9], v[2:3]
	s_delay_alu instid0(VALU_DEP_2) | instskip(NEXT) | instid1(VALU_DEP_2)
	v_fma_f64 v[6:7], v[8:9], v[0:1], v[6:7]
	v_fma_f64 v[2:3], v[0:1], v[10:11], -v[2:3]
	s_delay_alu instid0(VALU_DEP_2) | instskip(NEXT) | instid1(VALU_DEP_2)
	v_mul_f64_e32 v[0:1], s[0:1], v[6:7]
	v_mul_f64_e32 v[2:3], s[0:1], v[2:3]
	global_store_b128 v[16:17], v[0:3], off
	global_load_b128 v[0:3], v255, s[8:9] offset:2016
	ds_load_b128 v[4:7], v255 offset:2016
	ds_load_b128 v[8:11], v255 offset:3024
	s_wait_loadcnt_dscnt 0x1
	v_mul_f64_e32 v[18:19], v[6:7], v[2:3]
	v_mul_f64_e32 v[2:3], v[4:5], v[2:3]
	s_delay_alu instid0(VALU_DEP_2) | instskip(NEXT) | instid1(VALU_DEP_2)
	v_fma_f64 v[4:5], v[4:5], v[0:1], v[18:19]
	v_fma_f64 v[2:3], v[0:1], v[6:7], -v[2:3]
	s_delay_alu instid0(VALU_DEP_2) | instskip(NEXT) | instid1(VALU_DEP_2)
	v_mul_f64_e32 v[0:1], s[0:1], v[4:5]
	v_mul_f64_e32 v[2:3], s[0:1], v[2:3]
	v_add_co_u32 v4, vcc_lo, v16, s2
	s_wait_alu 0xfffd
	v_add_co_ci_u32_e32 v5, vcc_lo, s3, v17, vcc_lo
	s_delay_alu instid0(VALU_DEP_2) | instskip(SKIP_1) | instid1(VALU_DEP_2)
	v_add_co_u32 v16, vcc_lo, v4, s2
	s_wait_alu 0xfffd
	v_add_co_ci_u32_e32 v17, vcc_lo, s3, v5, vcc_lo
	global_store_b128 v[4:5], v[0:3], off
	global_load_b128 v[0:3], v255, s[8:9] offset:3024
	s_wait_loadcnt_dscnt 0x0
	v_mul_f64_e32 v[6:7], v[10:11], v[2:3]
	v_mul_f64_e32 v[2:3], v[8:9], v[2:3]
	s_delay_alu instid0(VALU_DEP_2) | instskip(NEXT) | instid1(VALU_DEP_2)
	v_fma_f64 v[6:7], v[8:9], v[0:1], v[6:7]
	v_fma_f64 v[2:3], v[0:1], v[10:11], -v[2:3]
	s_delay_alu instid0(VALU_DEP_2) | instskip(NEXT) | instid1(VALU_DEP_2)
	v_mul_f64_e32 v[0:1], s[0:1], v[6:7]
	v_mul_f64_e32 v[2:3], s[0:1], v[2:3]
	global_store_b128 v[16:17], v[0:3], off
	global_load_b128 v[0:3], v255, s[8:9] offset:4032
	ds_load_b128 v[4:7], v255 offset:4032
	ds_load_b128 v[8:11], v255 offset:5040
	s_wait_loadcnt_dscnt 0x1
	v_mul_f64_e32 v[18:19], v[6:7], v[2:3]
	v_mul_f64_e32 v[2:3], v[4:5], v[2:3]
	s_delay_alu instid0(VALU_DEP_2) | instskip(NEXT) | instid1(VALU_DEP_2)
	v_fma_f64 v[4:5], v[4:5], v[0:1], v[18:19]
	v_fma_f64 v[2:3], v[0:1], v[6:7], -v[2:3]
	s_delay_alu instid0(VALU_DEP_2) | instskip(NEXT) | instid1(VALU_DEP_2)
	v_mul_f64_e32 v[0:1], s[0:1], v[4:5]
	v_mul_f64_e32 v[2:3], s[0:1], v[2:3]
	v_add_co_u32 v4, vcc_lo, v16, s2
	s_wait_alu 0xfffd
	v_add_co_ci_u32_e32 v5, vcc_lo, s3, v17, vcc_lo
	s_delay_alu instid0(VALU_DEP_2) | instskip(SKIP_1) | instid1(VALU_DEP_2)
	v_add_co_u32 v16, vcc_lo, v4, s2
	s_wait_alu 0xfffd
	v_add_co_ci_u32_e32 v17, vcc_lo, s3, v5, vcc_lo
	global_store_b128 v[4:5], v[0:3], off
	;; [unrolled: 31-line block ×6, first 2 shown]
	global_load_b128 v[0:3], v255, s[8:9] offset:13104
	s_wait_loadcnt_dscnt 0x0
	v_mul_f64_e32 v[6:7], v[10:11], v[2:3]
	v_mul_f64_e32 v[2:3], v[8:9], v[2:3]
	s_delay_alu instid0(VALU_DEP_2) | instskip(NEXT) | instid1(VALU_DEP_2)
	v_fma_f64 v[6:7], v[8:9], v[0:1], v[6:7]
	v_fma_f64 v[2:3], v[0:1], v[10:11], -v[2:3]
	s_delay_alu instid0(VALU_DEP_2) | instskip(NEXT) | instid1(VALU_DEP_2)
	v_mul_f64_e32 v[0:1], s[0:1], v[6:7]
	v_mul_f64_e32 v[2:3], s[0:1], v[2:3]
	global_store_b128 v[16:17], v[0:3], off
	global_load_b128 v[0:3], v255, s[8:9] offset:14112
	ds_load_b128 v[4:7], v255 offset:14112
	ds_load_b128 v[8:11], v255 offset:15120
	s_wait_loadcnt_dscnt 0x1
	v_mul_f64_e32 v[18:19], v[6:7], v[2:3]
	v_mul_f64_e32 v[2:3], v[4:5], v[2:3]
	s_delay_alu instid0(VALU_DEP_2) | instskip(NEXT) | instid1(VALU_DEP_2)
	v_fma_f64 v[4:5], v[4:5], v[0:1], v[18:19]
	v_fma_f64 v[2:3], v[0:1], v[6:7], -v[2:3]
	s_delay_alu instid0(VALU_DEP_2) | instskip(NEXT) | instid1(VALU_DEP_2)
	v_mul_f64_e32 v[0:1], s[0:1], v[4:5]
	v_mul_f64_e32 v[2:3], s[0:1], v[2:3]
	v_add_co_u32 v4, vcc_lo, v16, s2
	s_wait_alu 0xfffd
	v_add_co_ci_u32_e32 v5, vcc_lo, s3, v17, vcc_lo
	global_store_b128 v[4:5], v[0:3], off
	global_load_b128 v[0:3], v255, s[8:9] offset:15120
	v_add_co_u32 v4, vcc_lo, v4, s2
	s_wait_alu 0xfffd
	v_add_co_ci_u32_e32 v5, vcc_lo, s3, v5, vcc_lo
	s_wait_loadcnt_dscnt 0x0
	v_mul_f64_e32 v[6:7], v[10:11], v[2:3]
	v_mul_f64_e32 v[2:3], v[8:9], v[2:3]
	s_delay_alu instid0(VALU_DEP_2) | instskip(NEXT) | instid1(VALU_DEP_2)
	v_fma_f64 v[6:7], v[8:9], v[0:1], v[6:7]
	v_fma_f64 v[2:3], v[0:1], v[10:11], -v[2:3]
	s_delay_alu instid0(VALU_DEP_2) | instskip(NEXT) | instid1(VALU_DEP_2)
	v_mul_f64_e32 v[0:1], s[0:1], v[6:7]
	v_mul_f64_e32 v[2:3], s[0:1], v[2:3]
	global_store_b128 v[4:5], v[0:3], off
	global_load_b128 v[0:3], v255, s[8:9] offset:16128
	v_add_co_u32 v4, vcc_lo, v4, s2
	s_wait_alu 0xfffd
	v_add_co_ci_u32_e32 v5, vcc_lo, s3, v5, vcc_lo
	s_wait_loadcnt 0x0
	v_mul_f64_e32 v[6:7], v[14:15], v[2:3]
	v_mul_f64_e32 v[2:3], v[12:13], v[2:3]
	s_delay_alu instid0(VALU_DEP_2) | instskip(NEXT) | instid1(VALU_DEP_2)
	v_fma_f64 v[6:7], v[12:13], v[0:1], v[6:7]
	v_fma_f64 v[2:3], v[0:1], v[14:15], -v[2:3]
	s_delay_alu instid0(VALU_DEP_2) | instskip(NEXT) | instid1(VALU_DEP_2)
	v_mul_f64_e32 v[0:1], s[0:1], v[6:7]
	v_mul_f64_e32 v[2:3], s[0:1], v[2:3]
	global_store_b128 v[4:5], v[0:3], off
.LBB0_23:
	s_endpgm
	.section	.rodata,"a",@progbits
	.p2align	6, 0x0
	.amdhsa_kernel bluestein_single_fwd_len1071_dim1_dp_op_CI_CI
		.amdhsa_group_segment_fixed_size 17136
		.amdhsa_private_segment_fixed_size 484
		.amdhsa_kernarg_size 104
		.amdhsa_user_sgpr_count 2
		.amdhsa_user_sgpr_dispatch_ptr 0
		.amdhsa_user_sgpr_queue_ptr 0
		.amdhsa_user_sgpr_kernarg_segment_ptr 1
		.amdhsa_user_sgpr_dispatch_id 0
		.amdhsa_user_sgpr_private_segment_size 0
		.amdhsa_wavefront_size32 1
		.amdhsa_uses_dynamic_stack 0
		.amdhsa_enable_private_segment 1
		.amdhsa_system_sgpr_workgroup_id_x 1
		.amdhsa_system_sgpr_workgroup_id_y 0
		.amdhsa_system_sgpr_workgroup_id_z 0
		.amdhsa_system_sgpr_workgroup_info 0
		.amdhsa_system_vgpr_workitem_id 0
		.amdhsa_next_free_vgpr 256
		.amdhsa_next_free_sgpr 60
		.amdhsa_reserve_vcc 1
		.amdhsa_float_round_mode_32 0
		.amdhsa_float_round_mode_16_64 0
		.amdhsa_float_denorm_mode_32 3
		.amdhsa_float_denorm_mode_16_64 3
		.amdhsa_fp16_overflow 0
		.amdhsa_workgroup_processor_mode 1
		.amdhsa_memory_ordered 1
		.amdhsa_forward_progress 0
		.amdhsa_round_robin_scheduling 0
		.amdhsa_exception_fp_ieee_invalid_op 0
		.amdhsa_exception_fp_denorm_src 0
		.amdhsa_exception_fp_ieee_div_zero 0
		.amdhsa_exception_fp_ieee_overflow 0
		.amdhsa_exception_fp_ieee_underflow 0
		.amdhsa_exception_fp_ieee_inexact 0
		.amdhsa_exception_int_div_zero 0
	.end_amdhsa_kernel
	.text
.Lfunc_end0:
	.size	bluestein_single_fwd_len1071_dim1_dp_op_CI_CI, .Lfunc_end0-bluestein_single_fwd_len1071_dim1_dp_op_CI_CI
                                        ; -- End function
	.section	.AMDGPU.csdata,"",@progbits
; Kernel info:
; codeLenInByte = 24796
; NumSgprs: 62
; NumVgprs: 256
; ScratchSize: 484
; MemoryBound: 0
; FloatMode: 240
; IeeeMode: 1
; LDSByteSize: 17136 bytes/workgroup (compile time only)
; SGPRBlocks: 7
; VGPRBlocks: 31
; NumSGPRsForWavesPerEU: 62
; NumVGPRsForWavesPerEU: 256
; Occupancy: 5
; WaveLimiterHint : 1
; COMPUTE_PGM_RSRC2:SCRATCH_EN: 1
; COMPUTE_PGM_RSRC2:USER_SGPR: 2
; COMPUTE_PGM_RSRC2:TRAP_HANDLER: 0
; COMPUTE_PGM_RSRC2:TGID_X_EN: 1
; COMPUTE_PGM_RSRC2:TGID_Y_EN: 0
; COMPUTE_PGM_RSRC2:TGID_Z_EN: 0
; COMPUTE_PGM_RSRC2:TIDIG_COMP_CNT: 0
	.text
	.p2alignl 7, 3214868480
	.fill 96, 4, 3214868480
	.type	__hip_cuid_de73b27d9051137d,@object ; @__hip_cuid_de73b27d9051137d
	.section	.bss,"aw",@nobits
	.globl	__hip_cuid_de73b27d9051137d
__hip_cuid_de73b27d9051137d:
	.byte	0                               ; 0x0
	.size	__hip_cuid_de73b27d9051137d, 1

	.ident	"AMD clang version 19.0.0git (https://github.com/RadeonOpenCompute/llvm-project roc-6.4.0 25133 c7fe45cf4b819c5991fe208aaa96edf142730f1d)"
	.section	".note.GNU-stack","",@progbits
	.addrsig
	.addrsig_sym __hip_cuid_de73b27d9051137d
	.amdgpu_metadata
---
amdhsa.kernels:
  - .args:
      - .actual_access:  read_only
        .address_space:  global
        .offset:         0
        .size:           8
        .value_kind:     global_buffer
      - .actual_access:  read_only
        .address_space:  global
        .offset:         8
        .size:           8
        .value_kind:     global_buffer
      - .actual_access:  read_only
        .address_space:  global
        .offset:         16
        .size:           8
        .value_kind:     global_buffer
      - .actual_access:  read_only
        .address_space:  global
        .offset:         24
        .size:           8
        .value_kind:     global_buffer
      - .actual_access:  read_only
        .address_space:  global
        .offset:         32
        .size:           8
        .value_kind:     global_buffer
      - .offset:         40
        .size:           8
        .value_kind:     by_value
      - .address_space:  global
        .offset:         48
        .size:           8
        .value_kind:     global_buffer
      - .address_space:  global
        .offset:         56
        .size:           8
        .value_kind:     global_buffer
      - .address_space:  global
        .offset:         64
        .size:           8
        .value_kind:     global_buffer
      - .address_space:  global
        .offset:         72
        .size:           8
        .value_kind:     global_buffer
      - .offset:         80
        .size:           4
        .value_kind:     by_value
      - .address_space:  global
        .offset:         88
        .size:           8
        .value_kind:     global_buffer
      - .address_space:  global
        .offset:         96
        .size:           8
        .value_kind:     global_buffer
    .group_segment_fixed_size: 17136
    .kernarg_segment_align: 8
    .kernarg_segment_size: 104
    .language:       OpenCL C
    .language_version:
      - 2
      - 0
    .max_flat_workgroup_size: 119
    .name:           bluestein_single_fwd_len1071_dim1_dp_op_CI_CI
    .private_segment_fixed_size: 484
    .sgpr_count:     62
    .sgpr_spill_count: 0
    .symbol:         bluestein_single_fwd_len1071_dim1_dp_op_CI_CI.kd
    .uniform_work_group_size: 1
    .uses_dynamic_stack: false
    .vgpr_count:     256
    .vgpr_spill_count: 206
    .wavefront_size: 32
    .workgroup_processor_mode: 1
amdhsa.target:   amdgcn-amd-amdhsa--gfx1201
amdhsa.version:
  - 1
  - 2
...

	.end_amdgpu_metadata
